;; amdgpu-corpus repo=ROCm/rocFFT kind=compiled arch=gfx950 opt=O3
	.text
	.amdgcn_target "amdgcn-amd-amdhsa--gfx950"
	.amdhsa_code_object_version 6
	.protected	fft_rtc_fwd_len336_factors_7_16_3_wgs_126_tpt_21_dim2_dp_op_CI_CI_sbcc_twdbase8_3step_dirReg_intrinsicReadWrite ; -- Begin function fft_rtc_fwd_len336_factors_7_16_3_wgs_126_tpt_21_dim2_dp_op_CI_CI_sbcc_twdbase8_3step_dirReg_intrinsicReadWrite
	.globl	fft_rtc_fwd_len336_factors_7_16_3_wgs_126_tpt_21_dim2_dp_op_CI_CI_sbcc_twdbase8_3step_dirReg_intrinsicReadWrite
	.p2align	8
	.type	fft_rtc_fwd_len336_factors_7_16_3_wgs_126_tpt_21_dim2_dp_op_CI_CI_sbcc_twdbase8_3step_dirReg_intrinsicReadWrite,@function
fft_rtc_fwd_len336_factors_7_16_3_wgs_126_tpt_21_dim2_dp_op_CI_CI_sbcc_twdbase8_3step_dirReg_intrinsicReadWrite: ; @fft_rtc_fwd_len336_factors_7_16_3_wgs_126_tpt_21_dim2_dp_op_CI_CI_sbcc_twdbase8_3step_dirReg_intrinsicReadWrite
; %bb.0:
	s_load_dwordx4 s[4:7], s[0:1], 0x10
	s_mov_b32 s3, 0
	s_waitcnt lgkmcnt(0)
	s_load_dwordx2 s[10:11], s[4:5], 0x8
	s_load_dwordx2 s[8:9], s[0:1], 0x58
	;; [unrolled: 1-line block ×3, first 2 shown]
	s_waitcnt lgkmcnt(0)
	s_add_u32 s4, s10, -1
	s_addc_u32 s5, s11, -1
	s_add_u32 s13, 0, 0xaaa80000
	s_addc_u32 s14, 0, 0xaa
	s_mul_hi_u32 s16, s13, -6
	s_add_i32 s14, s14, 0x2aaaaa00
	s_sub_i32 s16, s16, s13
	s_mul_i32 s19, s14, -6
	s_mul_i32 s15, s13, -6
	s_add_i32 s16, s16, s19
	s_mul_hi_u32 s17, s14, s15
	s_mul_i32 s18, s14, s15
	s_mul_i32 s20, s13, s16
	s_mul_hi_u32 s15, s13, s15
	s_mul_hi_u32 s19, s13, s16
	s_add_u32 s15, s15, s20
	s_addc_u32 s19, 0, s19
	s_add_u32 s15, s15, s18
	s_mul_hi_u32 s20, s14, s16
	s_addc_u32 s15, s19, s17
	s_addc_u32 s17, s20, 0
	s_mul_i32 s16, s14, s16
	s_add_u32 s15, s15, s16
	v_mov_b32_e32 v1, s15
	s_addc_u32 s16, 0, s17
	v_add_co_u32_e32 v1, vcc, s13, v1
	s_cmp_lg_u64 vcc, 0
	s_addc_u32 s13, s14, s16
	v_readfirstlane_b32 s16, v1
	s_mul_i32 s15, s4, s13
	s_mul_hi_u32 s17, s4, s16
	s_mul_hi_u32 s14, s4, s13
	s_add_u32 s15, s17, s15
	s_addc_u32 s14, 0, s14
	s_mul_hi_u32 s18, s5, s16
	s_mul_i32 s16, s5, s16
	s_add_u32 s15, s15, s16
	s_mul_hi_u32 s17, s5, s13
	s_addc_u32 s14, s14, s18
	s_addc_u32 s15, s17, 0
	s_mul_i32 s13, s5, s13
	s_add_u32 s13, s14, s13
	s_addc_u32 s14, 0, s15
	s_add_u32 s15, s13, 1
	s_addc_u32 s16, s14, 0
	s_add_u32 s17, s13, 2
	s_mul_i32 s19, s14, 6
	s_mul_hi_u32 s20, s13, 6
	s_addc_u32 s18, s14, 0
	s_add_i32 s20, s20, s19
	s_mul_i32 s19, s13, 6
	v_mov_b32_e32 v1, s19
	v_sub_co_u32_e32 v1, vcc, s4, v1
	s_cmp_lg_u64 vcc, 0
	s_subb_u32 s4, s5, s20
	v_subrev_co_u32_e32 v2, vcc, 6, v1
	s_cmp_lg_u64 vcc, 0
	s_subb_u32 s5, s4, 0
	v_readfirstlane_b32 s19, v2
	s_cmp_gt_u32 s19, 5
	s_cselect_b32 s19, -1, 0
	s_cmp_eq_u32 s5, 0
	s_cselect_b32 s5, s19, -1
	s_cmp_lg_u32 s5, 0
	s_cselect_b32 s5, s17, s15
	s_cselect_b32 s15, s18, s16
	v_readfirstlane_b32 s16, v1
	s_cmp_gt_u32 s16, 5
	s_cselect_b32 s16, -1, 0
	s_cmp_eq_u32 s4, 0
	s_cselect_b32 s4, s16, -1
	s_cmp_lg_u32 s4, 0
	s_cselect_b32 s4, s5, s13
	s_cselect_b32 s14, s15, s14
	s_add_u32 s4, s4, 1
	s_addc_u32 s5, s14, 0
	v_mov_b64_e32 v[2:3], s[4:5]
	v_cmp_lt_u64_e32 vcc, s[2:3], v[2:3]
	s_mov_b64 s[14:15], 0
	s_cbranch_vccnz .LBB0_2
; %bb.1:
	v_cvt_f32_u32_e32 v1, s4
	s_sub_i32 s3, 0, s4
	v_rcp_iflag_f32_e32 v1, v1
	s_nop 0
	v_mul_f32_e32 v1, 0x4f7ffffe, v1
	v_cvt_u32_f32_e32 v1, v1
	s_nop 0
	v_readfirstlane_b32 s13, v1
	s_mul_i32 s3, s3, s13
	s_mul_hi_u32 s3, s13, s3
	s_add_i32 s13, s13, s3
	s_mul_hi_u32 s3, s2, s13
	s_mul_i32 s14, s3, s4
	s_sub_i32 s14, s2, s14
	s_add_i32 s13, s3, 1
	s_sub_i32 s15, s14, s4
	s_cmp_ge_u32 s14, s4
	s_cselect_b32 s3, s13, s3
	s_cselect_b32 s14, s15, s14
	s_add_i32 s13, s3, 1
	s_cmp_ge_u32 s14, s4
	s_cselect_b32 s14, s13, s3
.LBB0_2:
	s_mul_i32 s3, s14, s5
	s_mul_hi_u32 s5, s14, s4
	s_add_i32 s5, s5, s3
	s_mul_i32 s3, s14, s4
	s_sub_u32 s2, s2, s3
	s_subb_u32 s3, 0, s5
	s_load_dwordx4 s[4:7], s[6:7], 0x8
	v_mul_u32_u24_e32 v1, 0x2aab, v0
	v_lshrrev_b32_e32 v128, 16, v1
	s_waitcnt lgkmcnt(0)
	s_mul_i32 s5, s3, 6
	s_mul_hi_u32 s3, s2, 6
	s_mul_i32 s15, s2, 6
	v_mul_lo_u16_e32 v1, 6, v128
	s_add_i32 s7, s3, s5
	s_mul_i32 s3, s15, s4
	s_mul_i32 s6, s6, s14
	v_sub_u16_e32 v120, v0, v1
	v_mov_b32_e32 v121, 0
	s_add_u32 s13, s6, s3
	v_mad_u64_u32 v[118:119], s[2:3], s2, 6, v[120:121]
	s_add_u32 s2, s15, 6
	s_addc_u32 s3, s7, 0
	v_mov_b64_e32 v[2:3], s[10:11]
	v_add_u32_e32 v119, s5, v119
	v_cmp_le_u64_e32 vcc, s[2:3], v[2:3]
	v_mad_u64_u32 v[86:87], s[2:3], s4, v120, 0
	v_cmp_gt_u64_e64 s[2:3], s[10:11], v[118:119]
	v_mov_b64_e32 v[16:17], 0
	s_or_b64 s[16:17], vcc, s[2:3]
	v_mov_b64_e32 v[4:5], v[16:17]
	v_mov_b64_e32 v[2:3], v[16:17]
	s_and_saveexec_b64 s[4:5], s[16:17]
	s_cbranch_execz .LBB0_4
; %bb.3:
	v_mul_lo_u32 v1, s12, v128
	v_add3_u32 v2, s13, v86, v1
	v_mov_b32_e32 v3, v121
	v_lshl_add_u64 v[2:3], v[2:3], 4, s[8:9]
	global_load_dwordx4 v[2:5], v[2:3], off
.LBB0_4:
	s_or_b64 exec, exec, s[4:5]
	v_mov_b64_e32 v[14:15], v[16:17]
	s_and_saveexec_b64 s[4:5], s[16:17]
	s_cbranch_execz .LBB0_6
; %bb.5:
	v_add_u32_e32 v1, 48, v128
	v_mul_lo_u32 v1, s12, v1
	v_add3_u32 v6, s13, v86, v1
	v_mov_b32_e32 v7, 0
	v_lshl_add_u64 v[6:7], v[6:7], 4, s[8:9]
	global_load_dwordx4 v[14:17], v[6:7], off
.LBB0_6:
	s_or_b64 exec, exec, s[4:5]
	v_mov_b64_e32 v[20:21], 0
	v_mov_b64_e32 v[24:25], v[20:21]
	v_mov_b64_e32 v[22:23], v[20:21]
	s_and_saveexec_b64 s[4:5], s[16:17]
	s_cbranch_execz .LBB0_8
; %bb.7:
	v_or_b32_e32 v1, 0x60, v128
	v_mul_lo_u32 v1, s12, v1
	v_add3_u32 v6, s13, v86, v1
	v_mov_b32_e32 v7, 0
	v_lshl_add_u64 v[6:7], v[6:7], 4, s[8:9]
	global_load_dwordx4 v[22:25], v[6:7], off
.LBB0_8:
	s_or_b64 exec, exec, s[4:5]
	v_mov_b64_e32 v[18:19], v[20:21]
	s_and_saveexec_b64 s[4:5], s[16:17]
	s_cbranch_execz .LBB0_10
; %bb.9:
	v_add_u32_e32 v1, 0x90, v128
	v_mul_lo_u32 v1, s12, v1
	v_add3_u32 v6, s13, v86, v1
	v_mov_b32_e32 v7, 0
	v_lshl_add_u64 v[6:7], v[6:7], 4, s[8:9]
	global_load_dwordx4 v[18:21], v[6:7], off
.LBB0_10:
	s_or_b64 exec, exec, s[4:5]
	v_mov_b64_e32 v[40:41], 0
	v_mov_b64_e32 v[36:37], v[40:41]
	v_mov_b64_e32 v[34:35], v[40:41]
	s_and_saveexec_b64 s[4:5], s[16:17]
	s_cbranch_execz .LBB0_12
; %bb.11:
	v_or_b32_e32 v1, 0xc0, v128
	v_mul_lo_u32 v1, s12, v1
	v_add3_u32 v6, s13, v86, v1
	v_mov_b32_e32 v7, 0
	v_lshl_add_u64 v[6:7], v[6:7], 4, s[8:9]
	global_load_dwordx4 v[34:37], v[6:7], off
.LBB0_12:
	;; [unrolled: 26-line block ×3, first 2 shown]
	s_or_b64 exec, exec, s[4:5]
	v_add_u32_e32 v1, 21, v128
	v_mov_b64_e32 v[6:7], v[8:9]
	s_and_saveexec_b64 s[4:5], s[16:17]
	s_cbranch_execz .LBB0_18
; %bb.17:
	v_mul_lo_u32 v6, s12, v1
	v_add3_u32 v6, s13, v86, v6
	v_mov_b32_e32 v7, 0
	v_lshl_add_u64 v[6:7], v[6:7], 4, s[8:9]
	global_load_dwordx4 v[6:9], v[6:7], off
.LBB0_18:
	s_or_b64 exec, exec, s[4:5]
	v_mov_b64_e32 v[28:29], 0
	v_mov_b64_e32 v[32:33], v[28:29]
	v_mov_b64_e32 v[30:31], v[28:29]
	s_and_saveexec_b64 s[4:5], s[16:17]
	s_cbranch_execz .LBB0_20
; %bb.19:
	v_add_u32_e32 v10, 0x45, v128
	v_mul_lo_u32 v10, s12, v10
	v_add3_u32 v10, s13, v86, v10
	v_mov_b32_e32 v11, 0
	v_lshl_add_u64 v[10:11], v[10:11], 4, s[8:9]
	global_load_dwordx4 v[30:33], v[10:11], off
.LBB0_20:
	s_or_b64 exec, exec, s[4:5]
	v_mov_b64_e32 v[26:27], v[28:29]
	s_and_saveexec_b64 s[4:5], s[16:17]
	s_cbranch_execz .LBB0_22
; %bb.21:
	v_add_u32_e32 v10, 0x75, v128
	v_mul_lo_u32 v10, s12, v10
	v_add3_u32 v10, s13, v86, v10
	v_mov_b32_e32 v11, 0
	v_lshl_add_u64 v[10:11], v[10:11], 4, s[8:9]
	global_load_dwordx4 v[26:29], v[10:11], off
.LBB0_22:
	s_or_b64 exec, exec, s[4:5]
	v_mov_b64_e32 v[44:45], 0
	v_mov_b64_e32 v[48:49], v[44:45]
	v_mov_b64_e32 v[46:47], v[44:45]
	s_and_saveexec_b64 s[4:5], s[16:17]
	s_cbranch_execz .LBB0_24
; %bb.23:
	v_add_u32_e32 v10, 0xa5, v128
	v_mul_lo_u32 v10, s12, v10
	v_add3_u32 v10, s13, v86, v10
	v_mov_b32_e32 v11, 0
	v_lshl_add_u64 v[10:11], v[10:11], 4, s[8:9]
	global_load_dwordx4 v[46:49], v[10:11], off
.LBB0_24:
	s_or_b64 exec, exec, s[4:5]
	v_mov_b64_e32 v[42:43], v[44:45]
	s_and_saveexec_b64 s[4:5], s[16:17]
	s_cbranch_execz .LBB0_26
; %bb.25:
	v_add_u32_e32 v10, 0xd5, v128
	v_mul_lo_u32 v10, s12, v10
	v_add3_u32 v10, s13, v86, v10
	v_mov_b32_e32 v11, 0
	v_lshl_add_u64 v[10:11], v[10:11], 4, s[8:9]
	global_load_dwordx4 v[42:45], v[10:11], off
.LBB0_26:
	;; [unrolled: 26-line block ×3, first 2 shown]
	s_or_b64 exec, exec, s[4:5]
	v_cmp_lt_u32_e64 s[4:5], 35, v0
	v_cmp_gt_u32_e64 s[6:7], 36, v0
	v_cndmask_b32_e64 v119, 0, 1, s[2:3]
	s_or_b64 s[2:3], s[4:5], vcc
	v_cndmask_b32_e64 v10, 0, 1, s[6:7]
	v_cndmask_b32_e64 v10, v119, v10, s[2:3]
	v_and_b32_e32 v10, 1, v10
	v_mov_b64_e32 v[52:53], 0
	v_add_u32_e32 v129, 42, v128
	v_cmp_eq_u32_e64 s[2:3], 1, v10
	v_mov_b64_e32 v[12:13], v[52:53]
	v_mov_b64_e32 v[10:11], v[52:53]
	s_and_saveexec_b64 s[4:5], s[2:3]
	s_cbranch_execz .LBB0_32
; %bb.31:
	v_mul_lo_u32 v10, s12, v129
	v_add3_u32 v10, s13, v86, v10
	v_mov_b32_e32 v11, 0
	v_lshl_add_u64 v[10:11], v[10:11], 4, s[8:9]
	global_load_dwordx4 v[10:13], v[10:11], off
.LBB0_32:
	s_or_b64 exec, exec, s[4:5]
	v_mov_b64_e32 v[50:51], v[52:53]
	s_and_saveexec_b64 s[4:5], s[2:3]
	s_cbranch_execz .LBB0_34
; %bb.33:
	v_add_u32_e32 v50, 0x5a, v128
	v_mul_lo_u32 v50, s12, v50
	v_add3_u32 v50, s13, v86, v50
	v_mov_b32_e32 v51, 0
	v_lshl_add_u64 v[50:51], v[50:51], 4, s[8:9]
	global_load_dwordx4 v[50:53], v[50:51], off
.LBB0_34:
	s_or_b64 exec, exec, s[4:5]
	v_mov_b64_e32 v[68:69], 0
	v_mov_b64_e32 v[72:73], v[68:69]
	;; [unrolled: 1-line block ×3, first 2 shown]
	s_and_saveexec_b64 s[4:5], s[2:3]
	s_cbranch_execz .LBB0_36
; %bb.35:
	v_add_u32_e32 v66, 0x8a, v128
	v_mul_lo_u32 v66, s12, v66
	v_add3_u32 v66, s13, v86, v66
	v_mov_b32_e32 v67, 0
	v_lshl_add_u64 v[66:67], v[66:67], 4, s[8:9]
	global_load_dwordx4 v[70:73], v[66:67], off
.LBB0_36:
	s_or_b64 exec, exec, s[4:5]
	v_mov_b64_e32 v[66:67], v[68:69]
	s_and_saveexec_b64 s[4:5], s[2:3]
	s_cbranch_execz .LBB0_38
; %bb.37:
	v_add_u32_e32 v66, 0xba, v128
	v_mul_lo_u32 v66, s12, v66
	v_add3_u32 v66, s13, v86, v66
	v_mov_b32_e32 v67, 0
	v_lshl_add_u64 v[66:67], v[66:67], 4, s[8:9]
	global_load_dwordx4 v[66:69], v[66:67], off
.LBB0_38:
	s_or_b64 exec, exec, s[4:5]
	v_mov_b64_e32 v[80:81], 0
	v_mov_b64_e32 v[76:77], v[80:81]
	;; [unrolled: 1-line block ×3, first 2 shown]
	s_and_saveexec_b64 s[4:5], s[2:3]
	s_cbranch_execz .LBB0_40
; %bb.39:
	v_add_u32_e32 v74, 0xea, v128
	v_mul_lo_u32 v74, s12, v74
	v_add3_u32 v74, s13, v86, v74
	v_mov_b32_e32 v75, 0
	v_lshl_add_u64 v[74:75], v[74:75], 4, s[8:9]
	global_load_dwordx4 v[74:77], v[74:75], off
.LBB0_40:
	s_or_b64 exec, exec, s[4:5]
	s_load_dwordx2 s[18:19], s[0:1], 0x20
	v_mov_b64_e32 v[78:79], v[80:81]
	s_and_saveexec_b64 s[4:5], s[2:3]
	s_cbranch_execz .LBB0_42
; %bb.41:
	v_add_u32_e32 v78, 0x11a, v128
	v_mul_lo_u32 v78, s12, v78
	v_add3_u32 v78, s13, v86, v78
	v_mov_b32_e32 v79, 0
	v_lshl_add_u64 v[78:79], v[78:79], 4, s[8:9]
	global_load_dwordx4 v[78:81], v[78:79], off
.LBB0_42:
	s_or_b64 exec, exec, s[4:5]
	s_load_dwordx2 s[10:11], s[0:1], 0x0
	v_mov_b64_e32 v[84:85], 0
	v_mov_b64_e32 v[82:83], v[84:85]
	s_and_saveexec_b64 s[4:5], s[2:3]
	s_cbranch_execz .LBB0_44
; %bb.43:
	v_add_u32_e32 v82, 0x14a, v128
	v_mul_lo_u32 v82, s12, v82
	v_add3_u32 v82, s13, v86, v82
	v_mov_b32_e32 v83, 0
	v_lshl_add_u64 v[82:83], v[82:83], 4, s[8:9]
	global_load_dwordx4 v[82:85], v[82:83], off
.LBB0_44:
	s_or_b64 exec, exec, s[4:5]
	s_waitcnt vmcnt(0)
	v_add_f64 v[88:89], v[14:15], v[54:55]
	v_add_f64 v[86:87], v[16:17], v[56:57]
	v_add_f64 v[54:55], v[14:15], -v[54:55]
	v_add_f64 v[14:15], v[16:17], -v[56:57]
	v_add_f64 v[90:91], v[22:23], v[38:39]
	v_add_f64 v[56:57], v[24:25], v[40:41]
	v_add_f64 v[22:23], v[22:23], -v[38:39]
	v_add_f64 v[16:17], v[24:25], -v[40:41]
	;; [unrolled: 4-line block ×3, first 2 shown]
	v_add_f64 v[96:97], v[46:47], v[42:43]
	v_add_f64 v[46:47], v[42:43], -v[46:47]
	v_add_f64 v[36:37], v[90:91], v[88:89]
	v_add_f64 v[42:43], v[56:57], v[86:87]
	;; [unrolled: 1-line block ×4, first 2 shown]
	v_add_f64 v[30:31], v[30:31], -v[62:63]
	v_add_f64 v[32:33], v[32:33], -v[64:65]
	v_add_f64 v[36:37], v[40:41], v[36:37]
	v_add_f64 v[42:43], v[38:39], v[42:43]
	v_add_f64 v[62:63], v[56:57], -v[86:87]
	v_add_f64 v[64:65], v[86:87], -v[38:39]
	;; [unrolled: 1-line block ×3, first 2 shown]
	v_add_f64 v[56:57], v[24:25], v[22:23]
	v_add_f64 v[110:111], v[66:67], v[74:75]
	v_add_f64 v[114:115], v[74:75], -v[66:67]
	v_add_f64 v[2:3], v[2:3], v[36:37]
	v_add_f64 v[66:67], v[24:25], -v[22:23]
	v_add_f64 v[24:25], v[54:55], -v[24:25]
	;; [unrolled: 1-line block ×3, first 2 shown]
	v_add_f64 v[54:55], v[56:57], v[54:55]
	v_add_f64 v[56:57], v[18:19], v[16:17]
	s_mov_b32 s2, 0xaaaaaaaa
	v_add_f64 v[112:113], v[68:69], v[76:77]
	v_add_f64 v[116:117], v[76:77], -v[68:69]
	v_add_f64 v[4:5], v[4:5], v[42:43]
	v_add_f64 v[68:69], v[18:19], -v[16:17]
	v_add_f64 v[18:19], v[14:15], -v[18:19]
	;; [unrolled: 1-line block ×3, first 2 shown]
	v_add_f64 v[14:15], v[56:57], v[14:15]
	s_mov_b32 s3, 0xbff2aaaa
	v_mov_b64_e32 v[56:57], v[2:3]
	s_mov_b32 s30, 0x37e14327
	s_mov_b32 s34, 0x36b3c0b5
	v_add_f64 v[94:95], v[28:29], v[60:61]
	v_add_f64 v[28:29], v[28:29], -v[60:61]
	v_add_f64 v[60:61], v[88:89], -v[40:41]
	v_add_f64 v[40:41], v[40:41], -v[90:91]
	v_fmac_f64_e32 v[56:57], s[2:3], v[36:37]
	v_mov_b64_e32 v[36:37], v[4:5]
	s_mov_b32 s31, 0x3fe948f6
	s_mov_b32 s35, 0x3fac98ee
	;; [unrolled: 1-line block ×3, first 2 shown]
	v_add_f64 v[92:93], v[26:27], v[58:59]
	v_add_f64 v[26:27], v[26:27], -v[58:59]
	v_add_f64 v[58:59], v[90:91], -v[88:89]
	v_fmac_f64_e32 v[36:37], s[2:3], v[42:43]
	v_mul_f64 v[42:43], v[60:61], s[30:31]
	s_mov_b32 s23, 0x3fe77f67
	v_mul_f64 v[60:61], v[40:41], s[34:35]
	s_mov_b32 s25, 0xbfe77f67
	s_mov_b32 s24, s22
	;; [unrolled: 1-line block ×4, first 2 shown]
	v_fma_f64 v[60:61], v[58:59], s[22:23], -v[60:61]
	v_fma_f64 v[58:59], v[58:59], s[24:25], -v[42:43]
	v_fmac_f64_e32 v[42:43], s[34:35], v[40:41]
	v_mul_f64 v[40:41], v[64:65], s[30:31]
	v_mul_f64 v[64:65], v[38:39], s[34:35]
	s_mov_b32 s37, 0xbfe11646
	s_mov_b32 s27, 0x3febfeb5
	;; [unrolled: 1-line block ×3, first 2 shown]
	v_fma_f64 v[64:65], v[62:63], s[22:23], -v[64:65]
	v_fma_f64 v[62:63], v[62:63], s[24:25], -v[40:41]
	v_fmac_f64_e32 v[40:41], s[34:35], v[38:39]
	v_mul_f64 v[66:67], v[66:67], s[36:37]
	s_mov_b32 s13, 0x3fd5d0dc
	v_mul_f64 v[38:39], v[22:23], s[26:27]
	s_mov_b32 s29, 0xbfd5d0dc
	s_mov_b32 s28, s12
	v_fma_f64 v[22:23], v[22:23], s[26:27], -v[66:67]
	v_fmac_f64_e32 v[66:67], s[12:13], v[24:25]
	v_fma_f64 v[24:25], v[24:25], s[28:29], -v[38:39]
	v_mul_f64 v[68:69], v[68:69], s[36:37]
	v_mul_f64 v[38:39], v[16:17], s[26:27]
	s_mov_b32 s20, 0x37c3f68c
	v_fma_f64 v[16:17], v[16:17], s[26:27], -v[68:69]
	v_fmac_f64_e32 v[68:69], s[12:13], v[18:19]
	v_fma_f64 v[18:19], v[18:19], s[28:29], -v[38:39]
	s_mov_b32 s21, 0x3fdc38aa
	v_add_f64 v[38:39], v[60:61], v[56:57]
	v_add_f64 v[60:61], v[58:59], v[56:57]
	v_fmac_f64_e32 v[18:19], s[20:21], v[14:15]
	v_add_f64 v[104:105], v[72:73], v[80:81]
	v_add_f64 v[108:109], v[72:73], -v[80:81]
	v_add_f64 v[72:73], v[40:41], v[36:37]
	v_add_f64 v[58:59], v[64:65], v[36:37]
	v_add_f64 v[62:63], v[62:63], v[36:37]
	v_fmac_f64_e32 v[66:67], s[20:21], v[54:55]
	v_fmac_f64_e32 v[22:23], s[20:21], v[54:55]
	;; [unrolled: 1-line block ×3, first 2 shown]
	v_add_f64 v[36:37], v[18:19], v[60:61]
	v_add_f64 v[60:61], v[60:61], -v[18:19]
	v_add_f64 v[18:19], v[92:93], v[20:21]
	v_add_f64 v[98:99], v[48:49], v[44:45]
	v_add_f64 v[44:45], v[44:45], -v[48:49]
	v_add_f64 v[102:103], v[70:71], v[78:79]
	v_add_f64 v[106:107], v[70:71], -v[78:79]
	v_add_f64 v[70:71], v[42:43], v[56:57]
	v_fmac_f64_e32 v[68:69], s[20:21], v[14:15]
	v_add_f64 v[40:41], v[38:39], -v[16:17]
	v_add_f64 v[42:43], v[22:23], v[58:59]
	v_add_f64 v[56:57], v[16:17], v[38:39]
	v_add_f64 v[58:59], v[58:59], -v[22:23]
	v_add_f64 v[16:17], v[72:73], -v[66:67]
	v_add_f64 v[66:67], v[66:67], v[72:73]
	v_add_f64 v[22:23], v[94:95], v[34:35]
	;; [unrolled: 1-line block ×5, first 2 shown]
	v_add_f64 v[64:65], v[70:71], -v[68:69]
	v_add_f64 v[22:23], v[98:99], v[22:23]
	v_add_f64 v[68:69], v[6:7], v[18:19]
	v_add_f64 v[74:75], v[46:47], -v[26:27]
	v_add_f64 v[46:47], v[30:31], -v[46:47]
	;; [unrolled: 1-line block ×3, first 2 shown]
	v_add_f64 v[30:31], v[72:73], v[30:31]
	v_add_f64 v[72:73], v[44:45], v[28:29]
	;; [unrolled: 1-line block ×3, first 2 shown]
	v_add_f64 v[76:77], v[44:45], -v[28:29]
	v_add_f64 v[44:45], v[32:33], -v[44:45]
	;; [unrolled: 1-line block ×3, first 2 shown]
	v_add_f64 v[32:33], v[72:73], v[32:33]
	v_mov_b64_e32 v[72:73], v[68:69]
	v_fmac_f64_e32 v[24:25], s[20:21], v[54:55]
	v_add_f64 v[6:7], v[92:93], -v[20:21]
	v_add_f64 v[8:9], v[20:21], -v[96:97]
	;; [unrolled: 1-line block ×3, first 2 shown]
	v_fmac_f64_e32 v[72:73], s[2:3], v[18:19]
	v_mov_b64_e32 v[18:19], v[70:71]
	v_add_f64 v[38:39], v[62:63], -v[24:25]
	v_add_f64 v[62:63], v[24:25], v[62:63]
	v_add_f64 v[24:25], v[94:95], -v[34:35]
	v_add_f64 v[34:35], v[34:35], -v[98:99]
	;; [unrolled: 1-line block ×3, first 2 shown]
	v_fmac_f64_e32 v[18:19], s[2:3], v[22:23]
	v_mul_f64 v[8:9], v[8:9], s[30:31]
	v_mul_f64 v[22:23], v[20:21], s[34:35]
	v_fma_f64 v[22:23], v[6:7], s[22:23], -v[22:23]
	v_fma_f64 v[6:7], v[6:7], s[24:25], -v[8:9]
	v_fmac_f64_e32 v[8:9], s[34:35], v[20:21]
	v_mul_f64 v[20:21], v[34:35], s[30:31]
	v_mul_f64 v[34:35], v[54:55], s[34:35]
	v_fma_f64 v[34:35], v[24:25], s[22:23], -v[34:35]
	v_fma_f64 v[24:25], v[24:25], s[24:25], -v[20:21]
	v_fmac_f64_e32 v[20:21], s[34:35], v[54:55]
	v_mul_f64 v[54:55], v[74:75], s[36:37]
	v_mul_f64 v[74:75], v[26:27], s[26:27]
	v_fma_f64 v[26:27], v[26:27], s[26:27], -v[54:55]
	v_fmac_f64_e32 v[54:55], s[12:13], v[46:47]
	v_fma_f64 v[46:47], v[46:47], s[28:29], -v[74:75]
	v_mul_f64 v[92:93], v[76:77], s[36:37]
	v_mul_f64 v[74:75], v[28:29], s[26:27]
	v_add_f64 v[20:21], v[20:21], v[18:19]
	v_fmac_f64_e32 v[54:55], s[20:21], v[30:31]
	s_movk_i32 s4, 0x2a0
	v_fma_f64 v[28:29], v[28:29], s[26:27], -v[92:93]
	v_fmac_f64_e32 v[92:93], s[12:13], v[44:45]
	v_fma_f64 v[44:45], v[44:45], s[28:29], -v[74:75]
	v_add_f64 v[90:91], v[20:21], -v[54:55]
	v_add_f64 v[94:95], v[54:55], v[20:21]
	v_mad_u32_u24 v55, v128, s4, 0
	v_lshlrev_b32_e32 v54, 4, v120
	v_add_f64 v[48:49], v[50:51], v[82:83]
	v_add_f64 v[100:101], v[52:53], v[84:85]
	;; [unrolled: 1-line block ×4, first 2 shown]
	v_fmac_f64_e32 v[92:93], s[20:21], v[32:33]
	v_fmac_f64_e32 v[44:45], s[20:21], v[32:33]
	v_add_u32_e32 v96, v55, v54
	v_add_f64 v[50:51], v[50:51], -v[82:83]
	v_add_f64 v[52:53], v[52:53], -v[84:85]
	v_add_f64 v[22:23], v[22:23], v[72:73]
	v_add_f64 v[34:35], v[34:35], v[18:19]
	;; [unrolled: 1-line block ×3, first 2 shown]
	v_fmac_f64_e32 v[26:27], s[20:21], v[30:31]
	v_fmac_f64_e32 v[28:29], s[20:21], v[32:33]
	;; [unrolled: 1-line block ×3, first 2 shown]
	v_add_f64 v[80:81], v[44:45], v[6:7]
	v_add_f64 v[84:85], v[6:7], -v[44:45]
	v_add_f64 v[88:89], v[92:93], v[8:9]
	v_add_f64 v[92:93], v[8:9], -v[92:93]
	v_add_f64 v[6:7], v[102:103], v[48:49]
	v_add_f64 v[8:9], v[104:105], v[100:101]
	ds_write_b128 v96, v[2:5]
	ds_write_b128 v96, v[14:17] offset:96
	v_add_f64 v[16:17], v[114:115], v[106:107]
	v_add_f64 v[72:73], v[22:23], -v[28:29]
	v_add_f64 v[74:75], v[26:27], v[34:35]
	v_add_f64 v[76:77], v[28:29], v[22:23]
	v_add_f64 v[78:79], v[34:35], -v[26:27]
	v_add_f64 v[82:83], v[18:19], -v[46:47]
	v_add_f64 v[86:87], v[46:47], v[18:19]
	v_add_f64 v[6:7], v[110:111], v[6:7]
	;; [unrolled: 1-line block ×3, first 2 shown]
	v_add_f64 v[2:3], v[102:103], -v[48:49]
	v_add_f64 v[4:5], v[48:49], -v[110:111]
	;; [unrolled: 1-line block ×7, first 2 shown]
	v_add_f64 v[22:23], v[16:17], v[50:51]
	v_add_f64 v[16:17], v[116:117], v[108:109]
	v_add_f64 v[46:47], v[116:117], -v[108:109]
	v_add_f64 v[48:49], v[108:109], -v[52:53]
	s_waitcnt lgkmcnt(0)
	s_load_dwordx2 s[8:9], s[18:19], 0x0
	s_load_dwordx4 s[4:7], s[18:19], 0x8
	v_add_f64 v[10:11], v[10:11], v[6:7]
	v_add_f64 v[12:13], v[12:13], v[8:9]
	v_add_f64 v[32:33], v[104:105], -v[100:101]
	v_add_f64 v[14:15], v[50:51], -v[114:115]
	;; [unrolled: 1-line block ×3, first 2 shown]
	v_add_f64 v[28:29], v[16:17], v[52:53]
	v_mul_f64 v[16:17], v[4:5], s[30:31]
	v_mul_f64 v[26:27], v[24:25], s[30:31]
	v_mul_f64 v[18:19], v[18:19], s[34:35]
	v_mul_f64 v[30:31], v[30:31], s[34:35]
	v_mul_f64 v[34:35], v[34:35], s[36:37]
	v_mul_f64 v[24:25], v[46:47], s[36:37]
	v_mul_f64 v[4:5], v[44:45], s[26:27]
	v_mul_f64 v[50:51], v[48:49], s[26:27]
	ds_write_b128 v96, v[36:39] offset:192
	v_fma_f64 v[38:39], s[2:3], v[6:7], v[10:11]
	v_fma_f64 v[46:47], s[2:3], v[8:9], v[12:13]
	v_fma_f64 v[6:7], v[2:3], s[22:23], -v[18:19]
	v_fma_f64 v[8:9], v[32:33], s[22:23], -v[30:31]
	;; [unrolled: 1-line block ×8, first 2 shown]
	ds_write_b128 v96, v[40:43] offset:288
	v_add_f64 v[40:41], v[6:7], v[38:39]
	v_add_f64 v[42:43], v[8:9], v[46:47]
	;; [unrolled: 1-line block ×4, first 2 shown]
	v_fmac_f64_e32 v[36:37], s[20:21], v[22:23]
	v_fmac_f64_e32 v[32:33], s[20:21], v[28:29]
	v_fmac_f64_e32 v[48:49], s[20:21], v[22:23]
	v_fmac_f64_e32 v[44:45], s[20:21], v[28:29]
	v_add_u32_e32 v55, 0x3720, v55
	ds_write_b128 v96, v[56:59] offset:384
	v_add_f64 v[2:3], v[44:45], v[50:51]
	v_add_f64 v[4:5], v[52:53], -v[48:49]
	v_add_f64 v[6:7], v[40:41], -v[32:33]
	v_add_f64 v[8:9], v[36:37], v[42:43]
	v_add_u32_e32 v56, v55, v54
	v_cmp_gt_u32_e64 s[2:3], 36, v0
	ds_write_b128 v96, v[60:63] offset:480
	ds_write_b128 v96, v[64:67] offset:576
	ds_write_b128 v56, v[68:71]
	ds_write_b128 v56, v[88:91] offset:96
	ds_write_b128 v56, v[80:83] offset:192
	;; [unrolled: 1-line block ×6, first 2 shown]
	s_and_saveexec_b64 s[18:19], s[2:3]
	s_cbranch_execz .LBB0_46
; %bb.45:
	v_mul_f64 v[14:15], v[14:15], s[12:13]
	v_mul_f64 v[22:23], v[22:23], s[20:21]
	v_add_f64 v[14:15], v[34:35], v[14:15]
	v_add_f64 v[34:35], v[22:23], v[14:15]
	v_add_f64 v[14:15], v[30:31], v[26:27]
	v_mul_f64 v[56:57], v[20:21], s[12:13]
	v_add_f64 v[26:27], v[14:15], v[46:47]
	v_add_f64 v[14:15], v[18:19], v[16:17]
	v_mul_f64 v[28:29], v[28:29], s[20:21]
	v_add_f64 v[30:31], v[14:15], v[38:39]
	v_add_f64 v[14:15], v[24:25], v[56:57]
	;; [unrolled: 1-line block ×4, first 2 shown]
	v_add_f64 v[18:19], v[30:31], -v[38:39]
	v_add_f64 v[28:29], v[26:27], -v[34:35]
	v_add_f64 v[26:27], v[38:39], v[30:31]
	v_lshl_add_u32 v30, v120, 4, v55
	v_add_f64 v[16:17], v[48:49], v[52:53]
	v_add_f64 v[14:15], v[50:51], -v[44:45]
	v_add_f64 v[24:25], v[42:43], -v[36:37]
	v_add_f64 v[22:23], v[32:33], v[40:41]
	ds_write_b128 v30, v[10:13] offset:14112
	ds_write_b128 v30, v[26:29] offset:14208
	;; [unrolled: 1-line block ×7, first 2 shown]
.LBB0_46:
	s_or_b64 exec, exec, s[18:19]
	v_mul_lo_u16_e32 v26, 37, v128
	v_mov_b32_e32 v10, 7
	v_mul_lo_u16_sdwa v10, v26, v10 dst_sel:DWORD dst_unused:UNUSED_PAD src0_sel:BYTE_1 src1_sel:DWORD
	v_sub_u16_e32 v27, v128, v10
	v_mov_b32_e32 v10, 15
	v_mul_u32_u24_sdwa v10, v27, v10 dst_sel:DWORD dst_unused:UNUSED_PAD src0_sel:BYTE_0 src1_sel:DWORD
	v_lshlrev_b32_e32 v28, 4, v10
	s_waitcnt lgkmcnt(0)
	s_barrier
	global_load_dwordx4 v[22:25], v28, s[10:11]
	global_load_dwordx4 v[18:21], v28, s[10:11] offset:16
	global_load_dwordx4 v[14:17], v28, s[10:11] offset:32
	;; [unrolled: 1-line block ×14, first 2 shown]
	v_mul_u32_u24_e32 v28, 0x60, v128
	v_add3_u32 v28, 0, v28, v54
	ds_read_b128 v[76:79], v28
	ds_read_b128 v[80:83], v28 offset:2016
	ds_read_b128 v[84:87], v28 offset:4032
	;; [unrolled: 1-line block ×3, first 2 shown]
	v_add_u32_e32 v29, 0x1800, v28
	v_add_u32_e32 v55, 0x2000, v28
	ds_read_b128 v[92:95], v28 offset:12096
	ds_read_b128 v[96:99], v28 offset:14112
	;; [unrolled: 1-line block ×10, first 2 shown]
	ds_read2_b64 v[142:145], v29 offset0:240 offset1:241
	ds_read2_b64 v[146:149], v55 offset0:236 offset1:237
	s_mov_b32 s2, 0x667f3bcd
	s_mov_b32 s3, 0xbfe6a09e
	;; [unrolled: 1-line block ×12, first 2 shown]
	s_movk_i32 s5, 0x70
	v_mul_u32_u24_sdwa v26, v26, s5 dst_sel:DWORD dst_unused:UNUSED_PAD src0_sel:BYTE_1 src1_sel:DWORD
	v_or_b32_sdwa v26, v26, v27 dst_sel:DWORD dst_unused:UNUSED_PAD src0_sel:DWORD src1_sel:BYTE_0
	v_mul_u32_u24_e32 v26, 0x60, v26
	v_add3_u32 v26, 0, v26, v54
	s_waitcnt lgkmcnt(0)
	s_barrier
	s_load_dwordx2 s[12:13], s[0:1], 0x60
	s_waitcnt vmcnt(14)
	v_mul_f64 v[116:117], v[82:83], v[24:25]
	v_mul_f64 v[24:25], v[80:81], v[24:25]
	s_waitcnt vmcnt(13)
	v_mul_f64 v[126:127], v[86:87], v[20:21]
	v_mul_f64 v[20:21], v[84:85], v[20:21]
	v_fma_f64 v[80:81], v[80:81], v[22:23], -v[116:117]
	v_fmac_f64_e32 v[24:25], v[82:83], v[22:23]
	s_waitcnt vmcnt(12)
	v_mul_f64 v[150:151], v[90:91], v[16:17]
	v_mul_f64 v[16:17], v[88:89], v[16:17]
	s_waitcnt vmcnt(6)
	v_mul_f64 v[22:23], v[106:107], v[48:49]
	v_mul_f64 v[48:49], v[104:105], v[48:49]
	;; [unrolled: 1-line block ×12, first 2 shown]
	s_waitcnt vmcnt(5)
	v_mul_f64 v[82:83], v[110:111], v[52:53]
	v_mul_f64 v[52:53], v[108:109], v[52:53]
	v_fma_f64 v[84:85], v[84:85], v[18:19], -v[126:127]
	v_fmac_f64_e32 v[20:21], v[86:87], v[18:19]
	s_waitcnt vmcnt(4)
	v_mul_f64 v[18:19], v[114:115], v[58:59]
	v_fma_f64 v[22:23], v[104:105], v[46:47], -v[22:23]
	v_fmac_f64_e32 v[48:49], v[106:107], v[46:47]
	v_mul_f64 v[46:47], v[112:113], v[58:59]
	v_fma_f64 v[86:87], v[88:89], v[14:15], -v[150:151]
	v_fmac_f64_e32 v[16:17], v[90:91], v[14:15]
	v_fma_f64 v[14:15], v[142:143], v[10:11], -v[152:153]
	v_fmac_f64_e32 v[12:13], v[144:145], v[10:11]
	;; [unrolled: 2-line block ×8, first 2 shown]
	s_waitcnt vmcnt(3)
	v_mul_f64 v[50:51], v[124:125], v[62:63]
	v_mul_f64 v[56:57], v[122:123], v[62:63]
	v_fma_f64 v[50:51], v[122:123], v[60:61], -v[50:51]
	v_fmac_f64_e32 v[56:57], v[124:125], v[60:61]
	s_waitcnt vmcnt(2)
	v_mul_f64 v[58:59], v[132:133], v[66:67]
	v_mul_f64 v[60:61], v[130:131], v[66:67]
	v_fma_f64 v[58:59], v[130:131], v[64:65], -v[58:59]
	v_fmac_f64_e32 v[60:61], v[132:133], v[64:65]
	;; [unrolled: 5-line block ×3, first 2 shown]
	s_waitcnt vmcnt(0)
	v_mul_f64 v[66:67], v[140:141], v[74:75]
	v_mul_f64 v[68:69], v[138:139], v[74:75]
	v_add_f64 v[38:39], v[76:77], -v[38:39]
	v_add_f64 v[44:45], v[78:79], -v[44:45]
	v_add_f64 v[50:51], v[14:15], -v[50:51]
	v_add_f64 v[56:57], v[12:13], -v[56:57]
	v_add_f64 v[42:43], v[84:85], -v[42:43]
	v_add_f64 v[52:53], v[20:21], -v[52:53]
	v_add_f64 v[62:63], v[30:31], -v[62:63]
	v_add_f64 v[64:65], v[36:37], -v[64:65]
	v_fma_f64 v[66:67], v[138:139], v[72:73], -v[66:67]
	v_fmac_f64_e32 v[68:69], v[140:141], v[72:73]
	v_fma_f64 v[70:71], v[76:77], 2.0, -v[38:39]
	v_fma_f64 v[72:73], v[78:79], 2.0, -v[44:45]
	;; [unrolled: 1-line block ×8, first 2 shown]
	v_add_f64 v[22:23], v[80:81], -v[22:23]
	v_add_f64 v[58:59], v[10:11], -v[58:59]
	;; [unrolled: 1-line block ×8, first 2 shown]
	v_fma_f64 v[76:77], v[80:81], 2.0, -v[22:23]
	v_add_f64 v[60:61], v[32:33], -v[60:61]
	v_fma_f64 v[10:11], v[10:11], 2.0, -v[58:59]
	v_fma_f64 v[78:79], v[86:87], 2.0, -v[18:19]
	v_add_f64 v[68:69], v[40:41], -v[68:69]
	v_fma_f64 v[34:35], v[34:35], 2.0, -v[66:67]
	v_fma_f64 v[70:71], v[70:71], 2.0, -v[14:15]
	;; [unrolled: 1-line block ×3, first 2 shown]
	v_add_f64 v[56:57], v[38:39], -v[56:57]
	v_add_f64 v[50:51], v[44:45], v[50:51]
	v_fma_f64 v[74:75], v[74:75], 2.0, -v[30:31]
	v_fma_f64 v[20:21], v[20:21], 2.0, -v[36:37]
	v_add_f64 v[64:65], v[42:43], -v[64:65]
	v_add_f64 v[62:63], v[52:53], v[62:63]
	v_add_f64 v[48:49], v[24:25], -v[48:49]
	v_fma_f64 v[32:33], v[32:33], 2.0, -v[60:61]
	v_add_f64 v[46:47], v[16:17], -v[46:47]
	v_fma_f64 v[40:41], v[40:41], 2.0, -v[68:69]
	v_fma_f64 v[38:39], v[38:39], 2.0, -v[56:57]
	;; [unrolled: 1-line block ×5, first 2 shown]
	v_add_f64 v[10:11], v[76:77], -v[10:11]
	v_add_f64 v[60:61], v[22:23], -v[60:61]
	;; [unrolled: 1-line block ×6, first 2 shown]
	v_fma_f64 v[88:89], s[18:19], v[64:65], v[56:57]
	v_fma_f64 v[16:17], v[16:17], 2.0, -v[46:47]
	v_fma_f64 v[76:77], v[76:77], 2.0, -v[10:11]
	v_add_f64 v[58:59], v[48:49], v[58:59]
	v_fma_f64 v[22:23], v[22:23], 2.0, -v[60:61]
	v_fma_f64 v[78:79], v[78:79], 2.0, -v[34:35]
	v_add_f64 v[66:67], v[46:47], v[66:67]
	v_fma_f64 v[18:19], v[18:19], 2.0, -v[68:69]
	v_fma_f64 v[20:21], v[70:71], 2.0, -v[74:75]
	;; [unrolled: 1-line block ×3, first 2 shown]
	v_fma_f64 v[72:73], s[2:3], v[42:43], v[38:39]
	v_fma_f64 v[82:83], s[2:3], v[52:53], v[44:45]
	;; [unrolled: 1-line block ×3, first 2 shown]
	v_fmac_f64_e32 v[88:89], s[2:3], v[62:63]
	v_fma_f64 v[24:25], v[24:25], 2.0, -v[48:49]
	v_fma_f64 v[48:49], v[48:49], 2.0, -v[58:59]
	v_add_f64 v[40:41], v[16:17], -v[40:41]
	v_fma_f64 v[46:47], v[46:47], 2.0, -v[66:67]
	v_fmac_f64_e32 v[72:73], s[2:3], v[52:53]
	v_fmac_f64_e32 v[82:83], s[18:19], v[42:43]
	v_add_f64 v[84:85], v[14:15], -v[36:37]
	v_fmac_f64_e32 v[90:91], s[18:19], v[64:65]
	v_fma_f64 v[52:53], v[56:57], 2.0, -v[88:89]
	v_add_f64 v[56:57], v[76:77], -v[78:79]
	v_fma_f64 v[64:65], s[2:3], v[18:19], v[22:23]
	v_add_f64 v[32:33], v[24:25], -v[32:33]
	v_fma_f64 v[42:43], v[44:45], 2.0, -v[82:83]
	v_fma_f64 v[44:45], v[14:15], 2.0, -v[84:85]
	v_fma_f64 v[14:15], v[76:77], 2.0, -v[56:57]
	v_fma_f64 v[76:77], s[2:3], v[46:47], v[48:49]
	v_fmac_f64_e32 v[64:65], s[2:3], v[46:47]
	v_add_f64 v[78:79], v[10:11], -v[40:41]
	v_fma_f64 v[24:25], v[24:25], 2.0, -v[32:33]
	v_fma_f64 v[16:17], v[16:17], 2.0, -v[40:41]
	;; [unrolled: 1-line block ×3, first 2 shown]
	v_add_f64 v[86:87], v[12:13], v[30:31]
	v_fmac_f64_e32 v[76:77], s[18:19], v[18:19]
	v_fma_f64 v[30:31], v[22:23], 2.0, -v[64:65]
	v_add_f64 v[92:93], v[32:33], v[34:35]
	v_fma_f64 v[10:11], v[10:11], 2.0, -v[78:79]
	v_fma_f64 v[96:97], s[18:19], v[66:67], v[58:59]
	v_add_f64 v[62:63], v[24:25], -v[16:17]
	v_fma_f64 v[36:37], v[48:49], 2.0, -v[76:77]
	v_fma_f64 v[40:41], v[32:33], 2.0, -v[92:93]
	v_fma_f64 v[94:95], s[18:19], v[68:69], v[60:61]
	v_fmac_f64_e32 v[96:97], s[18:19], v[68:69]
	v_fma_f64 v[22:23], s[22:23], v[30:31], v[38:39]
	v_fma_f64 v[34:35], s[2:3], v[10:11], v[44:45]
	v_fma_f64 v[12:13], v[12:13], 2.0, -v[86:87]
	v_fma_f64 v[50:51], v[50:51], 2.0, -v[90:91]
	;; [unrolled: 1-line block ×3, first 2 shown]
	v_fmac_f64_e32 v[94:95], s[2:3], v[66:67]
	v_fma_f64 v[48:49], v[58:59], 2.0, -v[96:97]
	v_fma_f64 v[24:25], s[22:23], v[36:37], v[42:43]
	v_fmac_f64_e32 v[22:23], s[20:21], v[36:37]
	v_fmac_f64_e32 v[34:35], s[2:3], v[40:41]
	v_fma_f64 v[46:47], v[60:61], 2.0, -v[94:95]
	v_fmac_f64_e32 v[24:25], s[24:25], v[30:31]
	v_fma_f64 v[30:31], v[38:39], 2.0, -v[22:23]
	v_fma_f64 v[36:37], s[2:3], v[40:41], v[12:13]
	v_fma_f64 v[38:39], v[44:45], 2.0, -v[34:35]
	v_fma_f64 v[44:45], s[20:21], v[48:49], v[50:51]
	v_add_f64 v[14:15], v[20:21], -v[14:15]
	v_add_f64 v[16:17], v[70:71], -v[16:17]
	v_fma_f64 v[32:33], v[42:43], 2.0, -v[24:25]
	v_fmac_f64_e32 v[36:37], s[18:19], v[10:11]
	v_fma_f64 v[42:43], s[20:21], v[46:47], v[52:53]
	v_fmac_f64_e32 v[44:45], s[26:27], v[46:47]
	v_fma_f64 v[18:19], v[20:21], 2.0, -v[14:15]
	v_fma_f64 v[20:21], v[70:71], 2.0, -v[16:17]
	;; [unrolled: 1-line block ×3, first 2 shown]
	v_fmac_f64_e32 v[42:43], s[22:23], v[48:49]
	v_fma_f64 v[48:49], v[50:51], 2.0, -v[44:45]
	v_add_f64 v[50:51], v[74:75], -v[62:63]
	v_fma_f64 v[60:61], s[24:25], v[64:65], v[72:73]
	v_fma_f64 v[62:63], s[24:25], v[76:77], v[82:83]
	;; [unrolled: 1-line block ×6, first 2 shown]
	v_fma_f64 v[46:47], v[52:53], 2.0, -v[42:43]
	v_add_f64 v[52:53], v[80:81], v[56:57]
	v_fmac_f64_e32 v[60:61], s[22:23], v[76:77]
	v_fmac_f64_e32 v[62:63], s[26:27], v[64:65]
	;; [unrolled: 1-line block ×6, first 2 shown]
	v_fma_f64 v[56:57], v[74:75], 2.0, -v[50:51]
	v_fma_f64 v[58:59], v[80:81], 2.0, -v[52:53]
	;; [unrolled: 1-line block ×8, first 2 shown]
	ds_write_b128 v26, v[18:21]
	ds_write_b128 v26, v[30:33] offset:672
	ds_write_b128 v26, v[38:41] offset:1344
	;; [unrolled: 1-line block ×15, first 2 shown]
	s_waitcnt lgkmcnt(0)
	s_barrier
	ds_read_b128 v[58:61], v28
	ds_read_b128 v[82:85], v28 offset:2016
	ds_read_b128 v[70:73], v28 offset:10752
	;; [unrolled: 1-line block ×9, first 2 shown]
	ds_read2_b64 v[78:81], v29 offset0:240 offset1:241
	ds_read_b128 v[74:77], v28 offset:21504
	ds_read_b128 v[62:65], v28 offset:18816
	;; [unrolled: 1-line block ×4, first 2 shown]
	v_cmp_gt_u32_e64 s[2:3], 42, v0
	s_and_saveexec_b64 s[18:19], s[2:3]
	s_cbranch_execz .LBB0_48
; %bb.47:
	v_add_u32_e32 v2, 0x2760, v28
	ds_read2_b64 v[10:13], v2 offset1:1
	ds_read_b128 v[2:5], v28 offset:20832
	ds_read_b128 v[6:9], v28 offset:31584
.LBB0_48:
	s_or_b64 exec, exec, s[18:19]
	v_add_u32_e32 v130, 0x69, v128
	v_mul_u32_u24_e32 v131, 0x24a, v130
	s_load_dwordx2 s[18:19], s[0:1], 0x8
	v_mul_lo_u16_sdwa v14, v131, s5 dst_sel:DWORD dst_unused:UNUSED_PAD src0_sel:WORD_1 src1_sel:DWORD
	v_sub_u16_e32 v14, v130, v14
	v_lshlrev_b32_e32 v15, 5, v14
	global_load_dwordx4 v[50:53], v15, s[10:11] offset:1696
	global_load_dwordx4 v[54:57], v15, s[10:11] offset:1680
	v_mul_lo_u32 v15, v118, v14
	v_mov_b32_e32 v135, 4
	v_lshlrev_b32_sdwa v16, v135, v15 dst_sel:DWORD dst_unused:UNUSED_PAD src0_sel:DWORD src1_sel:BYTE_0
	v_bfe_u32 v17, v15, 8, 8
	v_mov_b32_e32 v134, 0x1000
	v_lshl_or_b32 v17, v17, 4, v134
	s_waitcnt lgkmcnt(0)
	global_load_dwordx4 v[42:45], v16, s[18:19]
	global_load_dwordx4 v[46:49], v17, s[18:19]
	v_bfe_u32 v15, v15, 16, 8
	v_mov_b32_e32 v136, 0x2000
	v_add_u32_e32 v16, 0x70, v14
	v_lshl_or_b32 v15, v15, 4, v136
	v_mul_lo_u32 v16, v118, v16
	v_lshlrev_b32_sdwa v17, v135, v16 dst_sel:DWORD dst_unused:UNUSED_PAD src0_sel:DWORD src1_sel:BYTE_0
	global_load_dwordx4 v[38:41], v15, s[18:19]
	global_load_dwordx4 v[30:33], v17, s[18:19]
	v_bfe_u32 v15, v16, 8, 8
	v_bfe_u32 v16, v16, 16, 8
	v_add_u32_e32 v14, 0xe0, v14
	v_lshl_or_b32 v15, v15, 4, v134
	v_lshl_or_b32 v16, v16, 4, v136
	v_mul_lo_u32 v14, v118, v14
	global_load_dwordx4 v[34:37], v15, s[18:19]
	global_load_dwordx4 v[26:29], v16, s[18:19]
	v_lshlrev_b32_sdwa v15, v135, v14 dst_sel:DWORD dst_unused:UNUSED_PAD src0_sel:DWORD src1_sel:BYTE_0
	v_bfe_u32 v16, v14, 8, 8
	v_bfe_u32 v14, v14, 16, 8
	v_lshl_or_b32 v16, v16, 4, v134
	v_lshl_or_b32 v14, v14, 4, v136
	global_load_dwordx4 v[18:21], v15, s[18:19]
	global_load_dwordx4 v[22:25], v16, s[18:19]
	s_mul_i32 s0, s4, s15
	global_load_dwordx4 v[14:17], v14, s[18:19]
	s_mul_i32 s1, s6, s14
	s_add_u32 s9, s1, s0
	s_movk_i32 s14, 0xe0
	v_mad_u64_u32 v[120:121], s[0:1], s4, v120, 0
	s_and_saveexec_b64 s[2:3], s[16:17]
	s_cbranch_execz .LBB0_50
; %bb.49:
	v_add_u32_e32 v121, 0x54, v128
	v_mul_lo_u16_e32 v122, 0x93, v121
	v_lshrrev_b16_e32 v133, 14, v122
	v_mul_lo_u16_e32 v122, 0x70, v133
	v_sub_u16_e32 v122, v121, v122
	v_and_b32_e32 v137, 0xff, v122
	v_lshlrev_b32_e32 v122, 5, v137
	global_load_dwordx4 v[138:141], v122, s[10:11] offset:1696
	global_load_dwordx4 v[142:145], v122, s[10:11] offset:1680
	s_mov_b32 s4, 0xe8584caa
	s_mov_b32 s5, 0x3febb67a
	;; [unrolled: 1-line block ×4, first 2 shown]
	v_add_u32_e32 v132, 63, v128
	s_movk_i32 s0, 0x1a4
	v_cmp_gt_u32_e64 s[0:1], s0, v0
	s_waitcnt vmcnt(1)
	v_mul_f64 v[148:149], v[66:67], v[140:141]
	s_waitcnt vmcnt(0)
	v_mul_f64 v[146:147], v[62:63], v[144:145]
	v_mul_f64 v[122:123], v[64:65], v[144:145]
	v_fmac_f64_e32 v[146:147], v[64:65], v[142:143]
	v_fmac_f64_e32 v[148:149], v[68:69], v[138:139]
	v_fma_f64 v[122:123], v[62:63], v[142:143], -v[122:123]
	v_add_f64 v[62:63], v[146:147], v[148:149]
	v_mul_f64 v[124:125], v[68:69], v[140:141]
	v_fma_f64 v[150:151], -0.5, v[62:63], v[80:81]
	v_add_u32_e32 v62, 0xe0, v137
	v_fma_f64 v[124:125], v[66:67], v[138:139], -v[124:125]
	v_mul_lo_u32 v138, v118, v62
	v_bfe_u32 v62, v138, 16, 8
	v_lshlrev_b32_sdwa v66, v135, v138 dst_sel:DWORD dst_unused:UNUSED_PAD src0_sel:DWORD src1_sel:BYTE_0
	v_bfe_u32 v138, v138, 8, 8
	v_lshl_or_b32 v62, v62, 4, v136
	v_lshl_or_b32 v138, v138, 4, v134
	global_load_dwordx4 v[62:65], v62, s[18:19]
	v_add_f64 v[126:127], v[122:123], -v[124:125]
	global_load_dwordx4 v[66:69], v66, s[18:19]
	v_fma_f64 v[142:143], s[4:5], v[126:127], v[150:151]
	global_load_dwordx4 v[138:141], v138, s[18:19]
	v_add_f64 v[154:155], v[146:147], -v[148:149]
	v_fmac_f64_e32 v[150:151], s[6:7], v[126:127]
	v_add_f64 v[80:81], v[80:81], v[146:147]
	s_waitcnt vmcnt(0)
	v_mul_f64 v[144:145], v[68:69], v[140:141]
	v_fma_f64 v[144:145], v[66:67], v[138:139], -v[144:145]
	v_mul_f64 v[66:67], v[66:67], v[140:141]
	v_fmac_f64_e32 v[66:67], v[68:69], v[138:139]
	v_mul_f64 v[140:141], v[144:145], v[64:65]
	v_mul_f64 v[68:69], v[66:67], v[64:65]
	v_add_f64 v[138:139], v[122:123], v[124:125]
	v_fmac_f64_e32 v[140:141], v[62:63], v[66:67]
	v_add_u32_e32 v66, 0x70, v137
	v_fma_f64 v[152:153], -0.5, v[138:139], v[78:79]
	v_mul_lo_u32 v126, v118, v66
	v_fma_f64 v[138:139], s[6:7], v[154:155], v[152:153]
	v_bfe_u32 v66, v126, 16, 8
	v_lshlrev_b32_sdwa v127, v135, v126 dst_sel:DWORD dst_unused:UNUSED_PAD src0_sel:DWORD src1_sel:BYTE_0
	v_bfe_u32 v126, v126, 8, 8
	v_fma_f64 v[68:69], v[62:63], v[144:145], -v[68:69]
	v_mul_f64 v[64:65], v[138:139], v[140:141]
	v_mul_f64 v[62:63], v[142:143], v[140:141]
	v_lshl_or_b32 v66, v66, 4, v136
	v_lshl_or_b32 v126, v126, 4, v134
	v_fmac_f64_e32 v[64:65], v[142:143], v[68:69]
	v_fma_f64 v[62:63], v[138:139], v[68:69], -v[62:63]
	global_load_dwordx4 v[66:69], v66, s[18:19]
	v_fmac_f64_e32 v[152:153], s[4:5], v[154:155]
	global_load_dwordx4 v[142:145], v126, s[18:19]
	global_load_dwordx4 v[138:141], v127, s[18:19]
	v_add_f64 v[78:79], v[78:79], v[122:123]
	v_add_f64 v[78:79], v[78:79], v[124:125]
	s_waitcnt vmcnt(0)
	v_mul_f64 v[126:127], v[140:141], v[144:145]
	v_fma_f64 v[126:127], v[138:139], v[142:143], -v[126:127]
	v_mul_f64 v[138:139], v[138:139], v[144:145]
	v_fmac_f64_e32 v[138:139], v[140:141], v[142:143]
	v_mul_f64 v[140:141], v[138:139], v[68:69]
	v_fma_f64 v[140:141], v[66:67], v[126:127], -v[140:141]
	v_mul_f64 v[126:127], v[126:127], v[68:69]
	v_fmac_f64_e32 v[126:127], v[66:67], v[138:139]
	v_mul_f64 v[68:69], v[152:153], v[126:127]
	v_mul_f64 v[66:67], v[150:151], v[126:127]
	v_add_f64 v[126:127], v[80:81], v[148:149]
	v_mul_lo_u32 v80, v118, v137
	v_bfe_u32 v81, v80, 16, 8
	v_lshl_or_b32 v81, v81, 4, v136
	v_fmac_f64_e32 v[68:69], v[150:151], v[140:141]
	v_fma_f64 v[66:67], v[152:153], v[140:141], -v[66:67]
	global_load_dwordx4 v[138:141], v81, s[18:19]
	v_lshlrev_b32_sdwa v81, v135, v80 dst_sel:DWORD dst_unused:UNUSED_PAD src0_sel:DWORD src1_sel:BYTE_0
	v_bfe_u32 v80, v80, 8, 8
	v_lshl_or_b32 v80, v80, 4, v134
	global_load_dwordx4 v[142:145], v81, s[18:19]
	global_load_dwordx4 v[146:149], v80, s[18:19]
	s_waitcnt vmcnt(0)
	v_mul_f64 v[80:81], v[144:145], v[148:149]
	v_fma_f64 v[80:81], v[142:143], v[146:147], -v[80:81]
	v_mul_f64 v[142:143], v[142:143], v[148:149]
	v_fmac_f64_e32 v[142:143], v[144:145], v[146:147]
	v_mul_f64 v[122:123], v[80:81], v[140:141]
	v_mul_f64 v[144:145], v[142:143], v[140:141]
	v_fmac_f64_e32 v[122:123], v[138:139], v[142:143]
	v_fma_f64 v[144:145], v[138:139], v[80:81], -v[144:145]
	v_mul_f64 v[80:81], v[78:79], v[122:123]
	v_mul_f64 v[122:123], v[126:127], v[122:123]
	v_fma_f64 v[78:79], v[78:79], v[144:145], -v[122:123]
	v_mul_lo_u16_e32 v122, 0x93, v132
	v_lshrrev_b16_e32 v137, 14, v122
	v_mul_lo_u16_e32 v122, 0x70, v137
	v_sub_u16_e32 v122, v132, v122
	v_and_b32_e32 v156, 0xff, v122
	v_lshlrev_b32_e32 v122, 5, v156
	v_fmac_f64_e32 v[80:81], v[126:127], v[144:145]
	global_load_dwordx4 v[138:141], v122, s[10:11] offset:1696
	global_load_dwordx4 v[142:145], v122, s[10:11] offset:1680
	s_waitcnt vmcnt(1)
	v_mul_f64 v[148:149], v[90:91], v[140:141]
	s_waitcnt vmcnt(0)
	v_mul_f64 v[146:147], v[86:87], v[144:145]
	v_mul_f64 v[122:123], v[88:89], v[144:145]
	v_fmac_f64_e32 v[146:147], v[88:89], v[142:143]
	v_fmac_f64_e32 v[148:149], v[92:93], v[138:139]
	v_fma_f64 v[122:123], v[86:87], v[142:143], -v[122:123]
	v_add_f64 v[86:87], v[146:147], v[148:149]
	v_mul_f64 v[124:125], v[92:93], v[140:141]
	v_fma_f64 v[150:151], -0.5, v[86:87], v[104:105]
	v_add_u32_e32 v86, 0xe0, v156
	v_fma_f64 v[124:125], v[90:91], v[138:139], -v[124:125]
	v_mul_lo_u32 v138, v118, v86
	v_bfe_u32 v86, v138, 16, 8
	v_lshlrev_b32_sdwa v90, v135, v138 dst_sel:DWORD dst_unused:UNUSED_PAD src0_sel:DWORD src1_sel:BYTE_0
	v_bfe_u32 v138, v138, 8, 8
	v_lshl_or_b32 v86, v86, 4, v136
	v_lshl_or_b32 v138, v138, 4, v134
	global_load_dwordx4 v[86:89], v86, s[18:19]
	v_add_f64 v[126:127], v[122:123], -v[124:125]
	global_load_dwordx4 v[90:93], v90, s[18:19]
	v_fma_f64 v[142:143], s[4:5], v[126:127], v[150:151]
	global_load_dwordx4 v[138:141], v138, s[18:19]
	v_add_f64 v[154:155], v[146:147], -v[148:149]
	v_fmac_f64_e32 v[150:151], s[6:7], v[126:127]
	v_add_f64 v[104:105], v[104:105], v[146:147]
	s_waitcnt vmcnt(0)
	v_mul_f64 v[144:145], v[92:93], v[140:141]
	v_fma_f64 v[144:145], v[90:91], v[138:139], -v[144:145]
	v_mul_f64 v[90:91], v[90:91], v[140:141]
	v_fmac_f64_e32 v[90:91], v[92:93], v[138:139]
	v_mul_f64 v[140:141], v[144:145], v[88:89]
	v_mul_f64 v[92:93], v[90:91], v[88:89]
	v_add_f64 v[138:139], v[122:123], v[124:125]
	v_fmac_f64_e32 v[140:141], v[86:87], v[90:91]
	v_add_u32_e32 v90, 0x70, v156
	v_fma_f64 v[152:153], -0.5, v[138:139], v[102:103]
	v_mul_lo_u32 v126, v118, v90
	v_fma_f64 v[138:139], s[6:7], v[154:155], v[152:153]
	v_bfe_u32 v90, v126, 16, 8
	v_lshlrev_b32_sdwa v127, v135, v126 dst_sel:DWORD dst_unused:UNUSED_PAD src0_sel:DWORD src1_sel:BYTE_0
	v_bfe_u32 v126, v126, 8, 8
	v_fma_f64 v[92:93], v[86:87], v[144:145], -v[92:93]
	v_mul_f64 v[88:89], v[138:139], v[140:141]
	v_mul_f64 v[86:87], v[142:143], v[140:141]
	v_lshl_or_b32 v90, v90, 4, v136
	v_lshl_or_b32 v126, v126, 4, v134
	v_fmac_f64_e32 v[88:89], v[142:143], v[92:93]
	v_fma_f64 v[86:87], v[138:139], v[92:93], -v[86:87]
	global_load_dwordx4 v[90:93], v90, s[18:19]
	v_fmac_f64_e32 v[152:153], s[4:5], v[154:155]
	global_load_dwordx4 v[142:145], v126, s[18:19]
	global_load_dwordx4 v[138:141], v127, s[18:19]
	v_add_f64 v[102:103], v[102:103], v[122:123]
	v_add_f64 v[102:103], v[102:103], v[124:125]
	s_waitcnt vmcnt(0)
	v_mul_f64 v[126:127], v[140:141], v[144:145]
	v_fma_f64 v[126:127], v[138:139], v[142:143], -v[126:127]
	v_mul_f64 v[138:139], v[138:139], v[144:145]
	v_fmac_f64_e32 v[138:139], v[140:141], v[142:143]
	v_mul_f64 v[140:141], v[138:139], v[92:93]
	v_fma_f64 v[140:141], v[90:91], v[126:127], -v[140:141]
	v_mul_f64 v[126:127], v[126:127], v[92:93]
	v_fmac_f64_e32 v[126:127], v[90:91], v[138:139]
	v_mul_f64 v[92:93], v[152:153], v[126:127]
	v_mul_f64 v[90:91], v[150:151], v[126:127]
	v_add_f64 v[126:127], v[104:105], v[148:149]
	v_mul_lo_u32 v104, v118, v156
	v_bfe_u32 v105, v104, 16, 8
	v_lshl_or_b32 v105, v105, 4, v136
	v_fmac_f64_e32 v[92:93], v[150:151], v[140:141]
	v_fma_f64 v[90:91], v[152:153], v[140:141], -v[90:91]
	global_load_dwordx4 v[138:141], v105, s[18:19]
	v_lshlrev_b32_sdwa v105, v135, v104 dst_sel:DWORD dst_unused:UNUSED_PAD src0_sel:DWORD src1_sel:BYTE_0
	v_bfe_u32 v104, v104, 8, 8
	v_lshl_or_b32 v104, v104, 4, v134
	global_load_dwordx4 v[142:145], v105, s[18:19]
	global_load_dwordx4 v[146:149], v104, s[18:19]
	s_waitcnt vmcnt(0)
	v_mul_f64 v[104:105], v[144:145], v[148:149]
	v_fma_f64 v[104:105], v[142:143], v[146:147], -v[104:105]
	v_mul_f64 v[142:143], v[142:143], v[148:149]
	v_fmac_f64_e32 v[142:143], v[144:145], v[146:147]
	v_mul_f64 v[122:123], v[104:105], v[140:141]
	v_mul_f64 v[144:145], v[142:143], v[140:141]
	v_fmac_f64_e32 v[122:123], v[138:139], v[142:143]
	v_fma_f64 v[144:145], v[138:139], v[104:105], -v[144:145]
	v_mul_f64 v[104:105], v[102:103], v[122:123]
	v_mul_f64 v[122:123], v[126:127], v[122:123]
	v_fma_f64 v[102:103], v[102:103], v[144:145], -v[122:123]
	v_add_u32_e32 v122, 0xffffffba, v128
	v_cndmask_b32_e64 v158, v122, v129, s[0:1]
	v_lshlrev_b32_e32 v122, 1, v158
	v_mov_b32_e32 v123, 0
	v_lshl_add_u64 v[138:139], v[122:123], 4, s[10:11]
	v_fmac_f64_e32 v[104:105], v[126:127], v[144:145]
	global_load_dwordx4 v[124:127], v[138:139], off offset:1696
	s_nop 0
	global_load_dwordx4 v[138:141], v[138:139], off offset:1680
	s_movk_i32 s0, 0x222
	v_cmp_gt_u32_e64 s[0:1], s0, v0
	s_waitcnt vmcnt(1)
	v_mul_f64 v[150:151], v[110:111], v[126:127]
	s_waitcnt vmcnt(0)
	v_mul_f64 v[142:143], v[116:117], v[140:141]
	v_mul_f64 v[144:145], v[114:115], v[140:141]
	v_fma_f64 v[146:147], v[114:115], v[138:139], -v[142:143]
	v_mul_f64 v[142:143], v[112:113], v[126:127]
	v_fmac_f64_e32 v[144:145], v[116:117], v[138:139]
	v_fmac_f64_e32 v[150:151], v[112:113], v[124:125]
	v_fma_f64 v[148:149], v[110:111], v[124:125], -v[142:143]
	v_add_f64 v[110:111], v[144:145], v[150:151]
	v_fma_f64 v[152:153], -0.5, v[110:111], v[108:109]
	v_add_u32_e32 v110, 0xe0, v158
	v_mul_lo_u32 v122, v118, v110
	v_bfe_u32 v110, v122, 16, 8
	v_lshlrev_b32_sdwa v114, v135, v122 dst_sel:DWORD dst_unused:UNUSED_PAD src0_sel:DWORD src1_sel:BYTE_0
	v_bfe_u32 v122, v122, 8, 8
	v_lshl_or_b32 v110, v110, 4, v136
	v_lshl_or_b32 v122, v122, 4, v134
	global_load_dwordx4 v[110:113], v110, s[18:19]
	v_add_f64 v[142:143], v[146:147], -v[148:149]
	global_load_dwordx4 v[114:117], v114, s[18:19]
	v_fma_f64 v[138:139], s[4:5], v[142:143], v[152:153]
	global_load_dwordx4 v[124:127], v122, s[18:19]
	v_add_f64 v[156:157], v[144:145], -v[150:151]
	v_fmac_f64_e32 v[152:153], s[6:7], v[142:143]
	v_add_f64 v[108:109], v[108:109], v[144:145]
	v_add_f64 v[150:151], v[108:109], v[150:151]
	v_mul_lo_u32 v108, v118, v158
	v_bfe_u32 v109, v108, 16, 8
	v_lshl_or_b32 v109, v109, 4, v136
	s_waitcnt vmcnt(0)
	v_mul_f64 v[140:141], v[116:117], v[126:127]
	v_fma_f64 v[140:141], v[114:115], v[124:125], -v[140:141]
	v_mul_f64 v[114:115], v[114:115], v[126:127]
	v_fmac_f64_e32 v[114:115], v[116:117], v[124:125]
	v_add_f64 v[124:125], v[146:147], v[148:149]
	v_mul_f64 v[126:127], v[140:141], v[112:113]
	v_mul_f64 v[116:117], v[114:115], v[112:113]
	v_fma_f64 v[154:155], -0.5, v[124:125], v[106:107]
	v_fmac_f64_e32 v[126:127], v[110:111], v[114:115]
	v_add_u32_e32 v114, 0x70, v158
	v_fma_f64 v[116:117], v[110:111], v[140:141], -v[116:117]
	v_fma_f64 v[124:125], s[6:7], v[156:157], v[154:155]
	v_mul_f64 v[110:111], v[138:139], v[126:127]
	v_mul_lo_u32 v122, v118, v114
	v_mul_f64 v[112:113], v[124:125], v[126:127]
	v_fma_f64 v[110:111], v[124:125], v[116:117], -v[110:111]
	v_bfe_u32 v114, v122, 16, 8
	v_lshlrev_b32_sdwa v124, v135, v122 dst_sel:DWORD dst_unused:UNUSED_PAD src0_sel:DWORD src1_sel:BYTE_0
	v_bfe_u32 v122, v122, 8, 8
	v_lshl_or_b32 v114, v114, 4, v136
	v_lshl_or_b32 v122, v122, 4, v134
	v_fmac_f64_e32 v[112:113], v[138:139], v[116:117]
	global_load_dwordx4 v[114:117], v114, s[18:19]
	v_fmac_f64_e32 v[154:155], s[4:5], v[156:157]
	global_load_dwordx4 v[138:141], v122, s[18:19]
	v_add_u32_e32 v122, 0xffffffa5, v128
	global_load_dwordx4 v[124:127], v124, s[18:19]
	v_add_f64 v[106:107], v[106:107], v[146:147]
	v_cndmask_b32_e64 v158, v122, v1, s[0:1]
	v_add_f64 v[106:107], v[106:107], v[148:149]
	v_lshlrev_b32_e32 v122, 1, v158
	s_movk_i32 s0, 0x2a0
	v_cmp_gt_u32_e64 s[0:1], s0, v0
	s_waitcnt vmcnt(0)
	v_mul_f64 v[142:143], v[126:127], v[140:141]
	v_fma_f64 v[142:143], v[124:125], v[138:139], -v[142:143]
	v_mul_f64 v[124:125], v[124:125], v[140:141]
	v_fmac_f64_e32 v[124:125], v[126:127], v[138:139]
	v_mul_f64 v[138:139], v[142:143], v[116:117]
	v_mul_f64 v[126:127], v[124:125], v[116:117]
	v_fmac_f64_e32 v[138:139], v[114:115], v[124:125]
	v_fma_f64 v[126:127], v[114:115], v[142:143], -v[126:127]
	v_mul_f64 v[116:117], v[154:155], v[138:139]
	v_mul_f64 v[114:115], v[152:153], v[138:139]
	v_fmac_f64_e32 v[116:117], v[152:153], v[126:127]
	v_fma_f64 v[114:115], v[154:155], v[126:127], -v[114:115]
	global_load_dwordx4 v[124:127], v109, s[18:19]
	v_lshlrev_b32_sdwa v109, v135, v108 dst_sel:DWORD dst_unused:UNUSED_PAD src0_sel:DWORD src1_sel:BYTE_0
	v_bfe_u32 v108, v108, 8, 8
	v_lshl_or_b32 v108, v108, 4, v134
	global_load_dwordx4 v[138:141], v109, s[18:19]
	global_load_dwordx4 v[142:145], v108, s[18:19]
	s_waitcnt vmcnt(0)
	v_mul_f64 v[108:109], v[140:141], v[144:145]
	v_fma_f64 v[108:109], v[138:139], v[142:143], -v[108:109]
	v_mul_f64 v[138:139], v[138:139], v[144:145]
	v_fmac_f64_e32 v[138:139], v[140:141], v[142:143]
	v_mul_f64 v[140:141], v[138:139], v[126:127]
	v_mul_f64 v[126:127], v[108:109], v[126:127]
	v_fmac_f64_e32 v[126:127], v[124:125], v[138:139]
	v_fma_f64 v[140:141], v[124:125], v[108:109], -v[140:141]
	v_mul_f64 v[124:125], v[150:151], v[126:127]
	v_mul_f64 v[108:109], v[106:107], v[126:127]
	v_fma_f64 v[106:107], v[106:107], v[140:141], -v[124:125]
	v_lshl_add_u64 v[124:125], v[122:123], 4, s[10:11]
	v_fmac_f64_e32 v[108:109], v[150:151], v[140:141]
	global_load_dwordx4 v[138:141], v[124:125], off offset:1696
	global_load_dwordx4 v[142:145], v[124:125], off offset:1680
	s_waitcnt vmcnt(1)
	v_mul_f64 v[150:151], v[94:95], v[140:141]
	s_waitcnt vmcnt(0)
	v_mul_f64 v[148:149], v[98:99], v[144:145]
	v_mul_f64 v[126:127], v[96:97], v[140:141]
	v_fmac_f64_e32 v[148:149], v[100:101], v[142:143]
	v_fmac_f64_e32 v[150:151], v[96:97], v[138:139]
	v_fma_f64 v[126:127], v[94:95], v[138:139], -v[126:127]
	v_add_f64 v[94:95], v[148:149], v[150:151]
	v_fma_f64 v[152:153], -0.5, v[94:95], v[84:85]
	v_add_u32_e32 v94, 0xe0, v158
	v_mul_f64 v[124:125], v[100:101], v[144:145]
	v_mul_lo_u32 v122, v118, v94
	v_fma_f64 v[124:125], v[98:99], v[142:143], -v[124:125]
	v_bfe_u32 v94, v122, 16, 8
	v_lshlrev_b32_sdwa v98, v135, v122 dst_sel:DWORD dst_unused:UNUSED_PAD src0_sel:DWORD src1_sel:BYTE_0
	v_bfe_u32 v122, v122, 8, 8
	v_lshl_or_b32 v94, v94, 4, v136
	v_lshl_or_b32 v122, v122, 4, v134
	global_load_dwordx4 v[94:97], v94, s[18:19]
	v_add_f64 v[146:147], v[124:125], -v[126:127]
	global_load_dwordx4 v[98:101], v98, s[18:19]
	v_fma_f64 v[142:143], s[4:5], v[146:147], v[152:153]
	global_load_dwordx4 v[138:141], v122, s[18:19]
	v_add_f64 v[156:157], v[148:149], -v[150:151]
	v_fmac_f64_e32 v[152:153], s[6:7], v[146:147]
	v_add_f64 v[84:85], v[84:85], v[148:149]
	v_add_f64 v[150:151], v[84:85], v[150:151]
	v_mul_lo_u32 v84, v118, v158
	v_bfe_u32 v85, v84, 16, 8
	v_lshl_or_b32 v85, v85, 4, v136
	s_waitcnt vmcnt(0)
	v_mul_f64 v[144:145], v[100:101], v[140:141]
	v_fma_f64 v[144:145], v[98:99], v[138:139], -v[144:145]
	v_mul_f64 v[98:99], v[98:99], v[140:141]
	v_fmac_f64_e32 v[98:99], v[100:101], v[138:139]
	v_add_f64 v[138:139], v[124:125], v[126:127]
	v_mul_f64 v[140:141], v[144:145], v[96:97]
	v_mul_f64 v[100:101], v[98:99], v[96:97]
	v_fma_f64 v[154:155], -0.5, v[138:139], v[82:83]
	v_fmac_f64_e32 v[140:141], v[94:95], v[98:99]
	v_add_u32_e32 v98, 0x70, v158
	v_fma_f64 v[100:101], v[94:95], v[144:145], -v[100:101]
	v_fma_f64 v[138:139], s[6:7], v[156:157], v[154:155]
	v_mul_f64 v[94:95], v[142:143], v[140:141]
	v_mul_lo_u32 v122, v118, v98
	v_mul_f64 v[96:97], v[138:139], v[140:141]
	v_fma_f64 v[94:95], v[138:139], v[100:101], -v[94:95]
	v_bfe_u32 v98, v122, 16, 8
	v_lshlrev_b32_sdwa v138, v135, v122 dst_sel:DWORD dst_unused:UNUSED_PAD src0_sel:DWORD src1_sel:BYTE_0
	v_bfe_u32 v122, v122, 8, 8
	v_lshl_or_b32 v98, v98, 4, v136
	v_lshl_or_b32 v122, v122, 4, v134
	v_fmac_f64_e32 v[96:97], v[142:143], v[100:101]
	global_load_dwordx4 v[98:101], v98, s[18:19]
	v_fmac_f64_e32 v[154:155], s[4:5], v[156:157]
	global_load_dwordx4 v[142:145], v122, s[18:19]
	v_add_u32_e32 v122, 0xffffff90, v128
	global_load_dwordx4 v[138:141], v138, s[18:19]
	v_cndmask_b32_e64 v128, v122, v128, s[0:1]
	s_movk_i32 s0, 0x29f
	v_add_f64 v[82:83], v[82:83], v[124:125]
	v_cmp_lt_u32_e64 s[0:1], s0, v0
	v_mov_b32_e32 v122, 0x150
	v_add_f64 v[82:83], v[82:83], v[126:127]
	v_cndmask_b32_e64 v122, 0, v122, s[0:1]
	v_add_u32_e32 v158, v128, v122
	v_lshlrev_b32_e32 v122, 1, v128
	s_movk_i32 s0, 0x221
	v_cmp_lt_u32_e64 s[0:1], s0, v0
	s_waitcnt vmcnt(0)
	v_mul_f64 v[146:147], v[140:141], v[144:145]
	v_fma_f64 v[146:147], v[138:139], v[142:143], -v[146:147]
	v_mul_f64 v[138:139], v[138:139], v[144:145]
	v_fmac_f64_e32 v[138:139], v[140:141], v[142:143]
	v_mul_f64 v[142:143], v[146:147], v[100:101]
	v_mul_f64 v[140:141], v[138:139], v[100:101]
	v_fmac_f64_e32 v[142:143], v[98:99], v[138:139]
	v_fma_f64 v[140:141], v[98:99], v[146:147], -v[140:141]
	v_mul_f64 v[100:101], v[154:155], v[142:143]
	v_mul_f64 v[98:99], v[152:153], v[142:143]
	v_fmac_f64_e32 v[100:101], v[152:153], v[140:141]
	v_fma_f64 v[98:99], v[154:155], v[140:141], -v[98:99]
	global_load_dwordx4 v[138:141], v85, s[18:19]
	v_lshlrev_b32_sdwa v85, v135, v84 dst_sel:DWORD dst_unused:UNUSED_PAD src0_sel:DWORD src1_sel:BYTE_0
	v_bfe_u32 v84, v84, 8, 8
	v_lshl_or_b32 v84, v84, 4, v134
	global_load_dwordx4 v[142:145], v85, s[18:19]
	global_load_dwordx4 v[146:149], v84, s[18:19]
	s_waitcnt vmcnt(0)
	v_mul_f64 v[84:85], v[144:145], v[148:149]
	v_fma_f64 v[84:85], v[142:143], v[146:147], -v[84:85]
	v_mul_f64 v[142:143], v[142:143], v[148:149]
	v_fmac_f64_e32 v[142:143], v[144:145], v[146:147]
	v_mul_f64 v[124:125], v[84:85], v[140:141]
	v_mul_f64 v[144:145], v[142:143], v[140:141]
	v_fmac_f64_e32 v[124:125], v[138:139], v[142:143]
	v_fma_f64 v[144:145], v[138:139], v[84:85], -v[144:145]
	v_mul_f64 v[84:85], v[82:83], v[124:125]
	v_mul_f64 v[124:125], v[150:151], v[124:125]
	v_fma_f64 v[82:83], v[82:83], v[144:145], -v[124:125]
	v_lshl_add_u64 v[124:125], v[122:123], 4, s[10:11]
	v_fmac_f64_e32 v[84:85], v[150:151], v[144:145]
	global_load_dwordx4 v[138:141], v[124:125], off offset:1696
	global_load_dwordx4 v[142:145], v[124:125], off offset:1680
	s_waitcnt vmcnt(1)
	v_mul_f64 v[150:151], v[74:75], v[140:141]
	s_waitcnt vmcnt(0)
	v_mul_f64 v[148:149], v[70:71], v[144:145]
	v_mul_f64 v[124:125], v[72:73], v[144:145]
	v_fmac_f64_e32 v[148:149], v[72:73], v[142:143]
	v_fmac_f64_e32 v[150:151], v[76:77], v[138:139]
	v_fma_f64 v[124:125], v[70:71], v[142:143], -v[124:125]
	v_add_f64 v[70:71], v[148:149], v[150:151]
	v_fma_f64 v[152:153], -0.5, v[70:71], v[60:61]
	v_add_u32_e32 v70, 0xe0, v128
	v_mul_f64 v[126:127], v[76:77], v[140:141]
	v_mul_lo_u32 v122, v118, v70
	v_fma_f64 v[126:127], v[74:75], v[138:139], -v[126:127]
	v_bfe_u32 v70, v122, 16, 8
	v_lshlrev_b32_sdwa v74, v135, v122 dst_sel:DWORD dst_unused:UNUSED_PAD src0_sel:DWORD src1_sel:BYTE_0
	v_bfe_u32 v122, v122, 8, 8
	v_lshl_or_b32 v70, v70, 4, v136
	v_lshl_or_b32 v122, v122, 4, v134
	global_load_dwordx4 v[70:73], v70, s[18:19]
	v_add_f64 v[146:147], v[124:125], -v[126:127]
	global_load_dwordx4 v[74:77], v74, s[18:19]
	v_fma_f64 v[142:143], s[4:5], v[146:147], v[152:153]
	global_load_dwordx4 v[138:141], v122, s[18:19]
	v_add_f64 v[156:157], v[148:149], -v[150:151]
	v_fmac_f64_e32 v[152:153], s[6:7], v[146:147]
	v_add_f64 v[60:61], v[60:61], v[148:149]
	v_add_f64 v[150:151], v[60:61], v[150:151]
	v_mul_lo_u32 v60, v118, v128
	v_bfe_u32 v61, v60, 16, 8
	v_lshl_or_b32 v61, v61, 4, v136
	s_waitcnt vmcnt(0)
	v_mul_f64 v[144:145], v[76:77], v[140:141]
	v_fma_f64 v[144:145], v[74:75], v[138:139], -v[144:145]
	v_mul_f64 v[74:75], v[74:75], v[140:141]
	v_fmac_f64_e32 v[74:75], v[76:77], v[138:139]
	v_add_f64 v[138:139], v[124:125], v[126:127]
	v_mul_f64 v[140:141], v[144:145], v[72:73]
	v_mul_f64 v[76:77], v[74:75], v[72:73]
	v_fma_f64 v[154:155], -0.5, v[138:139], v[58:59]
	v_fmac_f64_e32 v[140:141], v[70:71], v[74:75]
	v_add_u32_e32 v74, 0x70, v128
	v_fma_f64 v[76:77], v[70:71], v[144:145], -v[76:77]
	v_fma_f64 v[138:139], s[6:7], v[156:157], v[154:155]
	v_mul_f64 v[70:71], v[142:143], v[140:141]
	v_mul_lo_u32 v122, v118, v74
	v_mul_f64 v[72:73], v[138:139], v[140:141]
	v_fma_f64 v[70:71], v[138:139], v[76:77], -v[70:71]
	v_bfe_u32 v74, v122, 16, 8
	v_lshlrev_b32_sdwa v138, v135, v122 dst_sel:DWORD dst_unused:UNUSED_PAD src0_sel:DWORD src1_sel:BYTE_0
	v_bfe_u32 v122, v122, 8, 8
	v_lshl_or_b32 v74, v74, 4, v136
	v_lshl_or_b32 v122, v122, 4, v134
	v_fmac_f64_e32 v[72:73], v[142:143], v[76:77]
	global_load_dwordx4 v[74:77], v74, s[18:19]
	v_fmac_f64_e32 v[154:155], s[4:5], v[156:157]
	global_load_dwordx4 v[142:145], v122, s[18:19]
	v_add_f64 v[58:59], v[58:59], v[124:125]
	global_load_dwordx4 v[138:141], v138, s[18:19]
	v_mul_lo_u32 v122, s8, v158
	v_add_f64 v[58:59], v[58:59], v[126:127]
	v_add3_u32 v122, v120, v122, s9
	s_waitcnt vmcnt(0)
	v_mul_f64 v[146:147], v[140:141], v[144:145]
	v_fma_f64 v[146:147], v[138:139], v[142:143], -v[146:147]
	v_mul_f64 v[138:139], v[138:139], v[144:145]
	v_fmac_f64_e32 v[138:139], v[140:141], v[142:143]
	v_mul_f64 v[142:143], v[146:147], v[76:77]
	v_mul_f64 v[140:141], v[138:139], v[76:77]
	v_fmac_f64_e32 v[142:143], v[74:75], v[138:139]
	v_fma_f64 v[140:141], v[74:75], v[146:147], -v[140:141]
	v_mul_f64 v[76:77], v[154:155], v[142:143]
	v_mul_f64 v[74:75], v[152:153], v[142:143]
	v_fmac_f64_e32 v[76:77], v[152:153], v[140:141]
	v_fma_f64 v[74:75], v[154:155], v[140:141], -v[74:75]
	global_load_dwordx4 v[138:141], v61, s[18:19]
	v_lshlrev_b32_sdwa v61, v135, v60 dst_sel:DWORD dst_unused:UNUSED_PAD src0_sel:DWORD src1_sel:BYTE_0
	v_bfe_u32 v60, v60, 8, 8
	v_lshl_or_b32 v60, v60, 4, v134
	global_load_dwordx4 v[142:145], v61, s[18:19]
	global_load_dwordx4 v[146:149], v60, s[18:19]
	v_lshl_add_u64 v[152:153], v[122:123], 4, s[12:13]
	s_waitcnt vmcnt(0)
	v_mul_f64 v[60:61], v[144:145], v[148:149]
	v_fma_f64 v[60:61], v[142:143], v[146:147], -v[60:61]
	v_mul_f64 v[134:135], v[142:143], v[148:149]
	v_fmac_f64_e32 v[134:135], v[146:147], v[144:145]
	v_mul_f64 v[124:125], v[140:141], v[60:61]
	v_mul_f64 v[142:143], v[140:141], v[134:135]
	v_fmac_f64_e32 v[124:125], v[138:139], v[134:135]
	v_fma_f64 v[142:143], v[138:139], v[60:61], -v[142:143]
	v_mul_f64 v[60:61], v[58:59], v[124:125]
	v_mul_f64 v[124:125], v[150:151], v[124:125]
	v_fmac_f64_e32 v[60:61], v[150:151], v[142:143]
	v_fma_f64 v[58:59], v[58:59], v[142:143], -v[124:125]
	global_store_dwordx4 v[152:153], v[58:61], off
	s_nop 1
	v_add_u32_e32 v58, 0x70, v158
	v_mul_lo_u32 v58, s8, v58
	v_add3_u32 v122, v120, v58, s9
	v_lshl_add_u64 v[58:59], v[122:123], 4, s[12:13]
	global_store_dwordx4 v[58:59], v[74:77], off
	v_add_u32_e32 v58, 0xe0, v158
	v_mul_lo_u32 v58, s8, v58
	v_add3_u32 v122, v120, v58, s9
	v_lshl_add_u64 v[58:59], v[122:123], 4, s[12:13]
	v_mov_b32_e32 v60, 0xe0
	global_store_dwordx4 v[58:59], v[70:73], off
	v_cndmask_b32_e64 v58, 0, v60, s[0:1]
	v_add_u32_e32 v1, v1, v58
	v_mul_lo_u32 v58, s8, v1
	v_add3_u32 v122, v120, v58, s9
	v_lshl_add_u64 v[58:59], v[122:123], 4, s[12:13]
	global_store_dwordx4 v[58:59], v[82:85], off
	v_add_u32_e32 v58, 0x70, v1
	v_mul_lo_u32 v58, s8, v58
	v_add_u32_e32 v1, 0xe0, v1
	s_movk_i32 s0, 0x1a3
	v_add3_u32 v122, v120, v58, s9
	v_mul_lo_u32 v1, s8, v1
	v_cmp_lt_u32_e64 s[0:1], s0, v0
	v_lshl_add_u64 v[58:59], v[122:123], 4, s[12:13]
	v_add3_u32 v122, v120, v1, s9
	v_cndmask_b32_e64 v1, 0, v60, s[0:1]
	global_store_dwordx4 v[58:59], v[98:101], off
	v_lshl_add_u64 v[58:59], v[122:123], 4, s[12:13]
	v_add_u32_e32 v1, v129, v1
	global_store_dwordx4 v[58:59], v[94:97], off
	v_mul_lo_u32 v58, s8, v1
	v_add3_u32 v122, v120, v58, s9
	v_lshl_add_u64 v[58:59], v[122:123], 4, s[12:13]
	global_store_dwordx4 v[58:59], v[106:109], off
	v_add_u32_e32 v58, 0x70, v1
	v_mul_lo_u32 v58, s8, v58
	v_add_u32_e32 v1, 0xe0, v1
	v_add3_u32 v122, v120, v58, s9
	v_mul_lo_u32 v1, s8, v1
	v_lshl_add_u64 v[58:59], v[122:123], 4, s[12:13]
	v_add3_u32 v122, v120, v1, s9
	global_store_dwordx4 v[58:59], v[114:117], off
	v_lshl_add_u64 v[58:59], v[122:123], 4, s[12:13]
	v_mad_u32_u24 v1, v137, s14, v132
	global_store_dwordx4 v[58:59], v[110:113], off
	v_mul_lo_u32 v58, s8, v1
	v_add3_u32 v122, v120, v58, s9
	v_lshl_add_u64 v[58:59], v[122:123], 4, s[12:13]
	global_store_dwordx4 v[58:59], v[102:105], off
	v_add_u32_e32 v58, 0x70, v1
	v_mul_lo_u32 v58, s8, v58
	v_add_u32_e32 v1, 0xe0, v1
	v_add3_u32 v122, v120, v58, s9
	v_mul_lo_u32 v1, s8, v1
	v_lshl_add_u64 v[58:59], v[122:123], 4, s[12:13]
	v_add3_u32 v122, v120, v1, s9
	global_store_dwordx4 v[58:59], v[90:93], off
	v_lshl_add_u64 v[58:59], v[122:123], 4, s[12:13]
	v_mad_u32_u24 v1, v133, s14, v121
	global_store_dwordx4 v[58:59], v[86:89], off
	v_mul_lo_u32 v58, s8, v1
	v_add3_u32 v122, v120, v58, s9
	v_lshl_add_u64 v[58:59], v[122:123], 4, s[12:13]
	global_store_dwordx4 v[58:59], v[78:81], off
	v_add_u32_e32 v58, 0x70, v1
	v_mul_lo_u32 v58, s8, v58
	v_add_u32_e32 v1, 0xe0, v1
	v_add3_u32 v122, v120, v58, s9
	v_mul_lo_u32 v1, s8, v1
	v_lshl_add_u64 v[58:59], v[122:123], 4, s[12:13]
	v_add3_u32 v122, v120, v1, s9
	global_store_dwordx4 v[58:59], v[66:69], off
	v_lshl_add_u64 v[58:59], v[122:123], 4, s[12:13]
	global_store_dwordx4 v[58:59], v[62:65], off
.LBB0_50:
	s_or_b64 exec, exec, s[2:3]
	v_cmp_lt_u32_e64 s[0:1], 41, v0
	v_cmp_gt_u32_e64 s[2:3], 42, v0
	s_or_b64 vcc, s[0:1], vcc
	s_nop 0
	v_cndmask_b32_e64 v0, 0, 1, s[2:3]
	v_cndmask_b32_e32 v0, v119, v0, vcc
	v_and_b32_e32 v0, 1, v0
	v_cmp_eq_u32_e32 vcc, 1, v0
	s_and_saveexec_b64 s[0:1], vcc
	s_cbranch_execz .LBB0_52
; %bb.51:
	s_waitcnt vmcnt(9)
	v_mul_f64 v[0:1], v[4:5], v[56:57]
	v_fma_f64 v[0:1], v[2:3], v[54:55], -v[0:1]
	v_mul_f64 v[2:3], v[2:3], v[56:57]
	v_fmac_f64_e32 v[2:3], v[4:5], v[54:55]
	v_mul_f64 v[4:5], v[8:9], v[52:53]
	v_fma_f64 v[4:5], v[6:7], v[50:51], -v[4:5]
	v_mul_f64 v[6:7], v[6:7], v[52:53]
	v_fmac_f64_e32 v[6:7], v[8:9], v[50:51]
	v_add_f64 v[50:51], v[0:1], v[4:5]
	s_mov_b32 s0, 0xe8584caa
	v_add_f64 v[8:9], v[10:11], v[0:1]
	v_fmac_f64_e32 v[10:11], -0.5, v[50:51]
	v_add_f64 v[50:51], v[2:3], -v[6:7]
	s_mov_b32 s1, 0x3febb67a
	s_mov_b32 s3, 0xbfebb67a
	;; [unrolled: 1-line block ×3, first 2 shown]
	v_fma_f64 v[52:53], s[0:1], v[50:51], v[10:11]
	v_fmac_f64_e32 v[10:11], s[2:3], v[50:51]
	v_add_f64 v[50:51], v[12:13], v[2:3]
	v_add_f64 v[2:3], v[2:3], v[6:7]
	v_fmac_f64_e32 v[12:13], -0.5, v[2:3]
	v_add_f64 v[0:1], v[0:1], -v[4:5]
	v_fma_f64 v[54:55], s[2:3], v[0:1], v[12:13]
	v_fmac_f64_e32 v[12:13], s[0:1], v[0:1]
	s_waitcnt vmcnt(7)
	v_mul_f64 v[0:1], v[44:45], v[48:49]
	v_fma_f64 v[0:1], v[42:43], v[46:47], -v[0:1]
	v_mul_f64 v[2:3], v[42:43], v[48:49]
	v_add_f64 v[50:51], v[50:51], v[6:7]
	v_fmac_f64_e32 v[2:3], v[44:45], v[46:47]
	s_waitcnt vmcnt(6)
	v_mul_f64 v[6:7], v[0:1], v[40:41]
	v_add_f64 v[8:9], v[8:9], v[4:5]
	v_mul_f64 v[4:5], v[2:3], v[40:41]
	v_fmac_f64_e32 v[6:7], v[38:39], v[2:3]
	v_fma_f64 v[4:5], v[38:39], v[0:1], -v[4:5]
	v_mul_f64 v[0:1], v[50:51], v[6:7]
	v_mul_f64 v[2:3], v[8:9], v[6:7]
	v_fma_f64 v[0:1], v[8:9], v[4:5], -v[0:1]
	v_fmac_f64_e32 v[2:3], v[50:51], v[4:5]
	s_waitcnt vmcnt(4)
	v_mul_f64 v[4:5], v[32:33], v[36:37]
	v_mul_f64 v[6:7], v[30:31], v[36:37]
	v_fma_f64 v[4:5], v[30:31], v[34:35], -v[4:5]
	v_fmac_f64_e32 v[6:7], v[32:33], v[34:35]
	s_waitcnt vmcnt(3)
	v_mul_f64 v[8:9], v[6:7], v[28:29]
	v_mul_f64 v[28:29], v[4:5], v[28:29]
	v_fmac_f64_e32 v[28:29], v[26:27], v[6:7]
	v_fma_f64 v[8:9], v[26:27], v[4:5], -v[8:9]
	v_mul_f64 v[4:5], v[54:55], v[28:29]
	v_mul_f64 v[6:7], v[52:53], v[28:29]
	v_fma_f64 v[4:5], v[52:53], v[8:9], -v[4:5]
	v_fmac_f64_e32 v[6:7], v[54:55], v[8:9]
	s_waitcnt vmcnt(1)
	v_mul_f64 v[8:9], v[20:21], v[24:25]
	v_fma_f64 v[8:9], v[18:19], v[22:23], -v[8:9]
	v_mul_f64 v[18:19], v[18:19], v[24:25]
	v_fmac_f64_e32 v[18:19], v[20:21], v[22:23]
	s_waitcnt vmcnt(0)
	v_mul_f64 v[20:21], v[18:19], v[16:17]
	v_mul_f64 v[16:17], v[8:9], v[16:17]
	v_fmac_f64_e32 v[16:17], v[14:15], v[18:19]
	v_fma_f64 v[20:21], v[14:15], v[8:9], -v[20:21]
	v_mul_f64 v[8:9], v[12:13], v[16:17]
	v_fma_f64 v[8:9], v[10:11], v[20:21], -v[8:9]
	v_mul_f64 v[10:11], v[10:11], v[16:17]
	s_mov_b32 s0, 0xffff
	v_fmac_f64_e32 v[10:11], v[12:13], v[20:21]
	v_and_b32_sdwa v12, s0, v131 dst_sel:DWORD dst_unused:UNUSED_PAD src0_sel:DWORD src1_sel:WORD_1
	s_movk_i32 s0, 0xe0
	v_mad_u32_u24 v16, v12, s0, v130
	v_mul_lo_u32 v12, s8, v16
	v_add3_u32 v12, v120, v12, s9
	v_mov_b32_e32 v13, 0
	v_lshl_add_u64 v[14:15], v[12:13], 4, s[12:13]
	global_store_dwordx4 v[14:15], v[0:3], off
	s_nop 1
	v_add_u32_e32 v0, 0x70, v16
	v_mul_lo_u32 v0, s8, v0
	v_add3_u32 v12, v120, v0, s9
	v_lshl_add_u64 v[0:1], v[12:13], 4, s[12:13]
	global_store_dwordx4 v[0:1], v[4:7], off
	v_add_u32_e32 v0, 0xe0, v16
	v_mul_lo_u32 v0, s8, v0
	v_add3_u32 v12, v120, v0, s9
	v_lshl_add_u64 v[0:1], v[12:13], 4, s[12:13]
	global_store_dwordx4 v[0:1], v[8:11], off
.LBB0_52:
	s_endpgm
	.section	.rodata,"a",@progbits
	.p2align	6, 0x0
	.amdhsa_kernel fft_rtc_fwd_len336_factors_7_16_3_wgs_126_tpt_21_dim2_dp_op_CI_CI_sbcc_twdbase8_3step_dirReg_intrinsicReadWrite
		.amdhsa_group_segment_fixed_size 0
		.amdhsa_private_segment_fixed_size 0
		.amdhsa_kernarg_size 104
		.amdhsa_user_sgpr_count 2
		.amdhsa_user_sgpr_dispatch_ptr 0
		.amdhsa_user_sgpr_queue_ptr 0
		.amdhsa_user_sgpr_kernarg_segment_ptr 1
		.amdhsa_user_sgpr_dispatch_id 0
		.amdhsa_user_sgpr_kernarg_preload_length 0
		.amdhsa_user_sgpr_kernarg_preload_offset 0
		.amdhsa_user_sgpr_private_segment_size 0
		.amdhsa_uses_dynamic_stack 0
		.amdhsa_enable_private_segment 0
		.amdhsa_system_sgpr_workgroup_id_x 1
		.amdhsa_system_sgpr_workgroup_id_y 0
		.amdhsa_system_sgpr_workgroup_id_z 0
		.amdhsa_system_sgpr_workgroup_info 0
		.amdhsa_system_vgpr_workitem_id 0
		.amdhsa_next_free_vgpr 162
		.amdhsa_next_free_sgpr 38
		.amdhsa_accum_offset 164
		.amdhsa_reserve_vcc 1
		.amdhsa_float_round_mode_32 0
		.amdhsa_float_round_mode_16_64 0
		.amdhsa_float_denorm_mode_32 3
		.amdhsa_float_denorm_mode_16_64 3
		.amdhsa_dx10_clamp 1
		.amdhsa_ieee_mode 1
		.amdhsa_fp16_overflow 0
		.amdhsa_tg_split 0
		.amdhsa_exception_fp_ieee_invalid_op 0
		.amdhsa_exception_fp_denorm_src 0
		.amdhsa_exception_fp_ieee_div_zero 0
		.amdhsa_exception_fp_ieee_overflow 0
		.amdhsa_exception_fp_ieee_underflow 0
		.amdhsa_exception_fp_ieee_inexact 0
		.amdhsa_exception_int_div_zero 0
	.end_amdhsa_kernel
	.text
.Lfunc_end0:
	.size	fft_rtc_fwd_len336_factors_7_16_3_wgs_126_tpt_21_dim2_dp_op_CI_CI_sbcc_twdbase8_3step_dirReg_intrinsicReadWrite, .Lfunc_end0-fft_rtc_fwd_len336_factors_7_16_3_wgs_126_tpt_21_dim2_dp_op_CI_CI_sbcc_twdbase8_3step_dirReg_intrinsicReadWrite
                                        ; -- End function
	.section	.AMDGPU.csdata,"",@progbits
; Kernel info:
; codeLenInByte = 11912
; NumSgprs: 44
; NumVgprs: 162
; NumAgprs: 0
; TotalNumVgprs: 162
; ScratchSize: 0
; MemoryBound: 0
; FloatMode: 240
; IeeeMode: 1
; LDSByteSize: 0 bytes/workgroup (compile time only)
; SGPRBlocks: 5
; VGPRBlocks: 20
; NumSGPRsForWavesPerEU: 44
; NumVGPRsForWavesPerEU: 162
; AccumOffset: 164
; Occupancy: 3
; WaveLimiterHint : 1
; COMPUTE_PGM_RSRC2:SCRATCH_EN: 0
; COMPUTE_PGM_RSRC2:USER_SGPR: 2
; COMPUTE_PGM_RSRC2:TRAP_HANDLER: 0
; COMPUTE_PGM_RSRC2:TGID_X_EN: 1
; COMPUTE_PGM_RSRC2:TGID_Y_EN: 0
; COMPUTE_PGM_RSRC2:TGID_Z_EN: 0
; COMPUTE_PGM_RSRC2:TIDIG_COMP_CNT: 0
; COMPUTE_PGM_RSRC3_GFX90A:ACCUM_OFFSET: 40
; COMPUTE_PGM_RSRC3_GFX90A:TG_SPLIT: 0
	.text
	.p2alignl 6, 3212836864
	.fill 256, 4, 3212836864
	.type	__hip_cuid_aa2df86eb68799a4,@object ; @__hip_cuid_aa2df86eb68799a4
	.section	.bss,"aw",@nobits
	.globl	__hip_cuid_aa2df86eb68799a4
__hip_cuid_aa2df86eb68799a4:
	.byte	0                               ; 0x0
	.size	__hip_cuid_aa2df86eb68799a4, 1

	.ident	"AMD clang version 19.0.0git (https://github.com/RadeonOpenCompute/llvm-project roc-6.4.0 25133 c7fe45cf4b819c5991fe208aaa96edf142730f1d)"
	.section	".note.GNU-stack","",@progbits
	.addrsig
	.addrsig_sym __hip_cuid_aa2df86eb68799a4
	.amdgpu_metadata
---
amdhsa.kernels:
  - .agpr_count:     0
    .args:
      - .actual_access:  read_only
        .address_space:  global
        .offset:         0
        .size:           8
        .value_kind:     global_buffer
      - .address_space:  global
        .offset:         8
        .size:           8
        .value_kind:     global_buffer
      - .actual_access:  read_only
        .address_space:  global
        .offset:         16
        .size:           8
        .value_kind:     global_buffer
      - .actual_access:  read_only
        .address_space:  global
        .offset:         24
        .size:           8
        .value_kind:     global_buffer
      - .actual_access:  read_only
        .address_space:  global
        .offset:         32
        .size:           8
        .value_kind:     global_buffer
      - .offset:         40
        .size:           8
        .value_kind:     by_value
      - .actual_access:  read_only
        .address_space:  global
        .offset:         48
        .size:           8
        .value_kind:     global_buffer
      - .actual_access:  read_only
        .address_space:  global
        .offset:         56
        .size:           8
        .value_kind:     global_buffer
      - .offset:         64
        .size:           4
        .value_kind:     by_value
      - .actual_access:  read_only
        .address_space:  global
        .offset:         72
        .size:           8
        .value_kind:     global_buffer
      - .actual_access:  read_only
        .address_space:  global
        .offset:         80
        .size:           8
        .value_kind:     global_buffer
      - .actual_access:  read_only
        .address_space:  global
        .offset:         88
        .size:           8
        .value_kind:     global_buffer
      - .actual_access:  write_only
        .address_space:  global
        .offset:         96
        .size:           8
        .value_kind:     global_buffer
    .group_segment_fixed_size: 0
    .kernarg_segment_align: 8
    .kernarg_segment_size: 104
    .language:       OpenCL C
    .language_version:
      - 2
      - 0
    .max_flat_workgroup_size: 126
    .name:           fft_rtc_fwd_len336_factors_7_16_3_wgs_126_tpt_21_dim2_dp_op_CI_CI_sbcc_twdbase8_3step_dirReg_intrinsicReadWrite
    .private_segment_fixed_size: 0
    .sgpr_count:     44
    .sgpr_spill_count: 0
    .symbol:         fft_rtc_fwd_len336_factors_7_16_3_wgs_126_tpt_21_dim2_dp_op_CI_CI_sbcc_twdbase8_3step_dirReg_intrinsicReadWrite.kd
    .uniform_work_group_size: 1
    .uses_dynamic_stack: false
    .vgpr_count:     162
    .vgpr_spill_count: 0
    .wavefront_size: 64
amdhsa.target:   amdgcn-amd-amdhsa--gfx950
amdhsa.version:
  - 1
  - 2
...

	.end_amdgpu_metadata
